;; amdgpu-corpus repo=ROCm/rocFFT kind=compiled arch=gfx1030 opt=O3
	.text
	.amdgcn_target "amdgcn-amd-amdhsa--gfx1030"
	.amdhsa_code_object_version 6
	.protected	fft_rtc_back_len3456_factors_6_6_6_4_4_wgs_144_tpt_144_halfLds_dp_op_CI_CI_unitstride_sbrr_C2R_dirReg ; -- Begin function fft_rtc_back_len3456_factors_6_6_6_4_4_wgs_144_tpt_144_halfLds_dp_op_CI_CI_unitstride_sbrr_C2R_dirReg
	.globl	fft_rtc_back_len3456_factors_6_6_6_4_4_wgs_144_tpt_144_halfLds_dp_op_CI_CI_unitstride_sbrr_C2R_dirReg
	.p2align	8
	.type	fft_rtc_back_len3456_factors_6_6_6_4_4_wgs_144_tpt_144_halfLds_dp_op_CI_CI_unitstride_sbrr_C2R_dirReg,@function
fft_rtc_back_len3456_factors_6_6_6_4_4_wgs_144_tpt_144_halfLds_dp_op_CI_CI_unitstride_sbrr_C2R_dirReg: ; @fft_rtc_back_len3456_factors_6_6_6_4_4_wgs_144_tpt_144_halfLds_dp_op_CI_CI_unitstride_sbrr_C2R_dirReg
; %bb.0:
	s_clause 0x2
	s_load_dwordx4 s[12:15], s[4:5], 0x0
	s_load_dwordx4 s[8:11], s[4:5], 0x58
	;; [unrolled: 1-line block ×3, first 2 shown]
	v_mul_u32_u24_e32 v1, 0x1c8, v0
	v_mov_b32_e32 v3, 0
	v_add_nc_u32_sdwa v5, s6, v1 dst_sel:DWORD dst_unused:UNUSED_PAD src0_sel:DWORD src1_sel:WORD_1
	v_mov_b32_e32 v1, 0
	v_mov_b32_e32 v6, v3
	v_mov_b32_e32 v2, 0
	s_waitcnt lgkmcnt(0)
	v_cmp_lt_u64_e64 s0, s[14:15], 2
	s_and_b32 vcc_lo, exec_lo, s0
	s_cbranch_vccnz .LBB0_8
; %bb.1:
	s_load_dwordx2 s[0:1], s[4:5], 0x10
	v_mov_b32_e32 v1, 0
	v_mov_b32_e32 v2, 0
	s_add_u32 s2, s18, 8
	s_addc_u32 s3, s19, 0
	s_add_u32 s6, s16, 8
	s_addc_u32 s7, s17, 0
	v_mov_b32_e32 v113, v2
	v_mov_b32_e32 v112, v1
	s_mov_b64 s[22:23], 1
	s_waitcnt lgkmcnt(0)
	s_add_u32 s20, s0, 8
	s_addc_u32 s21, s1, 0
.LBB0_2:                                ; =>This Inner Loop Header: Depth=1
	s_load_dwordx2 s[24:25], s[20:21], 0x0
                                        ; implicit-def: $vgpr116_vgpr117
	s_mov_b32 s0, exec_lo
	s_waitcnt lgkmcnt(0)
	v_or_b32_e32 v4, s25, v6
	v_cmpx_ne_u64_e32 0, v[3:4]
	s_xor_b32 s1, exec_lo, s0
	s_cbranch_execz .LBB0_4
; %bb.3:                                ;   in Loop: Header=BB0_2 Depth=1
	v_cvt_f32_u32_e32 v4, s24
	v_cvt_f32_u32_e32 v7, s25
	s_sub_u32 s0, 0, s24
	s_subb_u32 s26, 0, s25
	v_fmac_f32_e32 v4, 0x4f800000, v7
	v_rcp_f32_e32 v4, v4
	v_mul_f32_e32 v4, 0x5f7ffffc, v4
	v_mul_f32_e32 v7, 0x2f800000, v4
	v_trunc_f32_e32 v7, v7
	v_fmac_f32_e32 v4, 0xcf800000, v7
	v_cvt_u32_f32_e32 v7, v7
	v_cvt_u32_f32_e32 v4, v4
	v_mul_lo_u32 v8, s0, v7
	v_mul_hi_u32 v9, s0, v4
	v_mul_lo_u32 v10, s26, v4
	v_add_nc_u32_e32 v8, v9, v8
	v_mul_lo_u32 v9, s0, v4
	v_add_nc_u32_e32 v8, v8, v10
	v_mul_hi_u32 v10, v4, v9
	v_mul_lo_u32 v11, v4, v8
	v_mul_hi_u32 v12, v4, v8
	v_mul_hi_u32 v13, v7, v9
	v_mul_lo_u32 v9, v7, v9
	v_mul_hi_u32 v14, v7, v8
	v_mul_lo_u32 v8, v7, v8
	v_add_co_u32 v10, vcc_lo, v10, v11
	v_add_co_ci_u32_e32 v11, vcc_lo, 0, v12, vcc_lo
	v_add_co_u32 v9, vcc_lo, v10, v9
	v_add_co_ci_u32_e32 v9, vcc_lo, v11, v13, vcc_lo
	v_add_co_ci_u32_e32 v10, vcc_lo, 0, v14, vcc_lo
	v_add_co_u32 v8, vcc_lo, v9, v8
	v_add_co_ci_u32_e32 v9, vcc_lo, 0, v10, vcc_lo
	v_add_co_u32 v4, vcc_lo, v4, v8
	v_add_co_ci_u32_e32 v7, vcc_lo, v7, v9, vcc_lo
	v_mul_hi_u32 v8, s0, v4
	v_mul_lo_u32 v10, s26, v4
	v_mul_lo_u32 v9, s0, v7
	v_add_nc_u32_e32 v8, v8, v9
	v_mul_lo_u32 v9, s0, v4
	v_add_nc_u32_e32 v8, v8, v10
	v_mul_hi_u32 v10, v4, v9
	v_mul_lo_u32 v11, v4, v8
	v_mul_hi_u32 v12, v4, v8
	v_mul_hi_u32 v13, v7, v9
	v_mul_lo_u32 v9, v7, v9
	v_mul_hi_u32 v14, v7, v8
	v_mul_lo_u32 v8, v7, v8
	v_add_co_u32 v10, vcc_lo, v10, v11
	v_add_co_ci_u32_e32 v11, vcc_lo, 0, v12, vcc_lo
	v_add_co_u32 v9, vcc_lo, v10, v9
	v_add_co_ci_u32_e32 v9, vcc_lo, v11, v13, vcc_lo
	v_add_co_ci_u32_e32 v10, vcc_lo, 0, v14, vcc_lo
	v_add_co_u32 v8, vcc_lo, v9, v8
	v_add_co_ci_u32_e32 v9, vcc_lo, 0, v10, vcc_lo
	v_add_co_u32 v4, vcc_lo, v4, v8
	v_add_co_ci_u32_e32 v11, vcc_lo, v7, v9, vcc_lo
	v_mul_hi_u32 v13, v5, v4
	v_mad_u64_u32 v[9:10], null, v6, v4, 0
	v_mad_u64_u32 v[7:8], null, v5, v11, 0
	;; [unrolled: 1-line block ×3, first 2 shown]
	v_add_co_u32 v4, vcc_lo, v13, v7
	v_add_co_ci_u32_e32 v7, vcc_lo, 0, v8, vcc_lo
	v_add_co_u32 v4, vcc_lo, v4, v9
	v_add_co_ci_u32_e32 v4, vcc_lo, v7, v10, vcc_lo
	v_add_co_ci_u32_e32 v7, vcc_lo, 0, v12, vcc_lo
	v_add_co_u32 v4, vcc_lo, v4, v11
	v_add_co_ci_u32_e32 v9, vcc_lo, 0, v7, vcc_lo
	v_mul_lo_u32 v10, s25, v4
	v_mad_u64_u32 v[7:8], null, s24, v4, 0
	v_mul_lo_u32 v11, s24, v9
	v_sub_co_u32 v7, vcc_lo, v5, v7
	v_add3_u32 v8, v8, v11, v10
	v_sub_nc_u32_e32 v10, v6, v8
	v_subrev_co_ci_u32_e64 v10, s0, s25, v10, vcc_lo
	v_add_co_u32 v11, s0, v4, 2
	v_add_co_ci_u32_e64 v12, s0, 0, v9, s0
	v_sub_co_u32 v13, s0, v7, s24
	v_sub_co_ci_u32_e32 v8, vcc_lo, v6, v8, vcc_lo
	v_subrev_co_ci_u32_e64 v10, s0, 0, v10, s0
	v_cmp_le_u32_e32 vcc_lo, s24, v13
	v_cmp_eq_u32_e64 s0, s25, v8
	v_cndmask_b32_e64 v13, 0, -1, vcc_lo
	v_cmp_le_u32_e32 vcc_lo, s25, v10
	v_cndmask_b32_e64 v14, 0, -1, vcc_lo
	v_cmp_le_u32_e32 vcc_lo, s24, v7
	;; [unrolled: 2-line block ×3, first 2 shown]
	v_cndmask_b32_e64 v15, 0, -1, vcc_lo
	v_cmp_eq_u32_e32 vcc_lo, s25, v10
	v_cndmask_b32_e64 v7, v15, v7, s0
	v_cndmask_b32_e32 v10, v14, v13, vcc_lo
	v_add_co_u32 v13, vcc_lo, v4, 1
	v_add_co_ci_u32_e32 v14, vcc_lo, 0, v9, vcc_lo
	v_cmp_ne_u32_e32 vcc_lo, 0, v10
	v_cndmask_b32_e32 v8, v14, v12, vcc_lo
	v_cndmask_b32_e32 v10, v13, v11, vcc_lo
	v_cmp_ne_u32_e32 vcc_lo, 0, v7
	v_cndmask_b32_e32 v117, v9, v8, vcc_lo
	v_cndmask_b32_e32 v116, v4, v10, vcc_lo
.LBB0_4:                                ;   in Loop: Header=BB0_2 Depth=1
	s_andn2_saveexec_b32 s0, s1
	s_cbranch_execz .LBB0_6
; %bb.5:                                ;   in Loop: Header=BB0_2 Depth=1
	v_cvt_f32_u32_e32 v4, s24
	s_sub_i32 s1, 0, s24
	v_mov_b32_e32 v117, v3
	v_rcp_iflag_f32_e32 v4, v4
	v_mul_f32_e32 v4, 0x4f7ffffe, v4
	v_cvt_u32_f32_e32 v4, v4
	v_mul_lo_u32 v7, s1, v4
	v_mul_hi_u32 v7, v4, v7
	v_add_nc_u32_e32 v4, v4, v7
	v_mul_hi_u32 v4, v5, v4
	v_mul_lo_u32 v7, v4, s24
	v_add_nc_u32_e32 v8, 1, v4
	v_sub_nc_u32_e32 v7, v5, v7
	v_subrev_nc_u32_e32 v9, s24, v7
	v_cmp_le_u32_e32 vcc_lo, s24, v7
	v_cndmask_b32_e32 v7, v7, v9, vcc_lo
	v_cndmask_b32_e32 v4, v4, v8, vcc_lo
	v_cmp_le_u32_e32 vcc_lo, s24, v7
	v_add_nc_u32_e32 v8, 1, v4
	v_cndmask_b32_e32 v116, v4, v8, vcc_lo
.LBB0_6:                                ;   in Loop: Header=BB0_2 Depth=1
	s_or_b32 exec_lo, exec_lo, s0
	v_mul_lo_u32 v4, v117, s24
	v_mul_lo_u32 v9, v116, s25
	s_load_dwordx2 s[0:1], s[6:7], 0x0
	v_mad_u64_u32 v[7:8], null, v116, s24, 0
	s_load_dwordx2 s[24:25], s[2:3], 0x0
	s_add_u32 s22, s22, 1
	s_addc_u32 s23, s23, 0
	s_add_u32 s2, s2, 8
	s_addc_u32 s3, s3, 0
	s_add_u32 s6, s6, 8
	v_add3_u32 v4, v8, v9, v4
	v_sub_co_u32 v5, vcc_lo, v5, v7
	s_addc_u32 s7, s7, 0
	s_add_u32 s20, s20, 8
	v_sub_co_ci_u32_e32 v4, vcc_lo, v6, v4, vcc_lo
	s_addc_u32 s21, s21, 0
	s_waitcnt lgkmcnt(0)
	v_mul_lo_u32 v6, s0, v4
	v_mul_lo_u32 v7, s1, v5
	v_mad_u64_u32 v[1:2], null, s0, v5, v[1:2]
	v_mul_lo_u32 v4, s24, v4
	v_mul_lo_u32 v8, s25, v5
	v_mad_u64_u32 v[112:113], null, s24, v5, v[112:113]
	v_cmp_ge_u64_e64 s0, s[22:23], s[14:15]
	v_add3_u32 v2, v7, v2, v6
	v_add3_u32 v113, v8, v113, v4
	s_and_b32 vcc_lo, exec_lo, s0
	s_cbranch_vccnz .LBB0_9
; %bb.7:                                ;   in Loop: Header=BB0_2 Depth=1
	v_mov_b32_e32 v5, v116
	v_mov_b32_e32 v6, v117
	s_branch .LBB0_2
.LBB0_8:
	v_mov_b32_e32 v113, v2
	v_mov_b32_e32 v117, v6
	;; [unrolled: 1-line block ×4, first 2 shown]
.LBB0_9:
	s_load_dwordx2 s[0:1], s[4:5], 0x28
	v_mul_hi_u32 v3, 0x1c71c72, v0
	s_lshl_b64 s[4:5], s[14:15], 3
                                        ; implicit-def: $vgpr114
	s_add_u32 s2, s18, s4
	s_addc_u32 s3, s19, s5
	s_waitcnt lgkmcnt(0)
	v_cmp_gt_u64_e32 vcc_lo, s[0:1], v[116:117]
	v_cmp_le_u64_e64 s0, s[0:1], v[116:117]
	s_and_saveexec_b32 s1, s0
	s_xor_b32 s0, exec_lo, s1
; %bb.10:
	v_mul_u32_u24_e32 v1, 0x90, v3
                                        ; implicit-def: $vgpr3
	v_sub_nc_u32_e32 v114, v0, v1
                                        ; implicit-def: $vgpr0
                                        ; implicit-def: $vgpr1_vgpr2
; %bb.11:
	s_or_saveexec_b32 s1, s0
	s_load_dwordx2 s[2:3], s[2:3], 0x0
	s_xor_b32 exec_lo, exec_lo, s1
	s_cbranch_execz .LBB0_15
; %bb.12:
	s_add_u32 s4, s16, s4
	s_addc_u32 s5, s17, s5
	v_lshlrev_b64 v[1:2], 4, v[1:2]
	s_load_dwordx2 s[4:5], s[4:5], 0x0
	s_waitcnt lgkmcnt(0)
	v_mul_lo_u32 v6, s5, v116
	v_mul_lo_u32 v7, s4, v117
	v_mad_u64_u32 v[4:5], null, s4, v116, 0
	v_add3_u32 v5, v5, v7, v6
	v_mul_u32_u24_e32 v6, 0x90, v3
	v_lshlrev_b64 v[3:4], 4, v[4:5]
	v_sub_nc_u32_e32 v114, v0, v6
	v_lshlrev_b32_e32 v98, 4, v114
	v_add_co_u32 v0, s0, s8, v3
	v_add_co_ci_u32_e64 v3, s0, s9, v4, s0
	v_add_co_u32 v0, s0, v0, v1
	v_add_co_ci_u32_e64 v1, s0, v3, v2, s0
	v_or_b32_e32 v2, 0x9000, v98
	v_add_co_u32 v74, s0, v0, v98
	v_add_co_ci_u32_e64 v75, s0, 0, v1, s0
	v_add_co_u32 v18, s0, v0, v2
	v_add_co_ci_u32_e64 v19, s0, 0, v1, s0
	;; [unrolled: 2-line block ×24, first 2 shown]
	s_clause 0x17
	global_load_dwordx4 v[2:5], v[74:75], off
	global_load_dwordx4 v[6:9], v[6:7], off offset:256
	global_load_dwordx4 v[10:13], v[10:11], off offset:512
	;; [unrolled: 1-line block ×3, first 2 shown]
	global_load_dwordx4 v[18:21], v[18:19], off
	global_load_dwordx4 v[22:25], v[22:23], off offset:256
	global_load_dwordx4 v[26:29], v[26:27], off offset:1024
	;; [unrolled: 1-line block ×5, first 2 shown]
	global_load_dwordx4 v[42:45], v[42:43], off
	global_load_dwordx4 v[46:49], v[46:47], off offset:256
	global_load_dwordx4 v[50:53], v[50:51], off offset:512
	;; [unrolled: 1-line block ×13, first 2 shown]
	v_add_nc_u32_e32 v98, 0, v98
	v_cmp_eq_u32_e64 s0, 0x8f, v114
	s_waitcnt vmcnt(23)
	ds_write_b128 v98, v[2:5]
	s_waitcnt vmcnt(19)
	ds_write_b128 v98, v[18:21] offset:36864
	ds_write_b128 v98, v[6:9] offset:2304
	;; [unrolled: 1-line block ×4, first 2 shown]
	s_waitcnt vmcnt(17)
	ds_write_b128 v98, v[26:29] offset:9216
	s_waitcnt vmcnt(16)
	ds_write_b128 v98, v[30:33] offset:11520
	;; [unrolled: 2-line block ×12, first 2 shown]
	ds_write_b128 v98, v[22:25] offset:39168
	s_waitcnt vmcnt(5)
	ds_write_b128 v98, v[74:77] offset:41472
	s_waitcnt vmcnt(4)
	;; [unrolled: 2-line block ×6, first 2 shown]
	ds_write_b128 v98, v[94:97] offset:52992
	s_and_saveexec_b32 s4, s0
	s_cbranch_execz .LBB0_14
; %bb.13:
	v_add_co_u32 v0, s0, 0xd800, v0
	v_add_co_ci_u32_e64 v1, s0, 0, v1, s0
	v_mov_b32_e32 v4, 0
	v_mov_b32_e32 v114, 0x8f
	global_load_dwordx4 v[0:3], v[0:1], off
	s_waitcnt vmcnt(0)
	ds_write_b128 v4, v[0:3] offset:55296
.LBB0_14:
	s_or_b32 exec_lo, exec_lo, s4
.LBB0_15:
	s_or_b32 exec_lo, exec_lo, s1
	v_lshlrev_b32_e32 v0, 4, v114
	s_waitcnt lgkmcnt(0)
	s_barrier
	buffer_gl0_inv
	s_add_u32 s1, s12, 0xd7a0
	v_add_nc_u32_e32 v139, 0, v0
	v_sub_nc_u32_e32 v14, 0, v0
	s_addc_u32 s4, s13, 0
	s_mov_b32 s5, exec_lo
	ds_read_b64 v[4:5], v139
	ds_read_b64 v[6:7], v14 offset:55296
	s_waitcnt lgkmcnt(0)
	v_add_f64 v[0:1], v[4:5], v[6:7]
	v_add_f64 v[2:3], v[4:5], -v[6:7]
	v_cmpx_ne_u32_e32 0, v114
	s_xor_b32 s5, exec_lo, s5
	s_cbranch_execz .LBB0_17
; %bb.16:
	v_mov_b32_e32 v115, 0
	v_add_f64 v[12:13], v[4:5], v[6:7]
	v_add_f64 v[15:16], v[4:5], -v[6:7]
	v_lshlrev_b64 v[0:1], 4, v[114:115]
	v_add_co_u32 v0, s0, s1, v0
	v_add_co_ci_u32_e64 v1, s0, s4, v1, s0
	global_load_dwordx4 v[8:11], v[0:1], off
	ds_read_b64 v[0:1], v14 offset:55304
	ds_read_b64 v[2:3], v139 offset:8
	s_waitcnt lgkmcnt(0)
	v_add_f64 v[4:5], v[0:1], v[2:3]
	v_add_f64 v[0:1], v[2:3], -v[0:1]
	s_waitcnt vmcnt(0)
	v_fma_f64 v[2:3], v[15:16], v[10:11], v[12:13]
	v_fma_f64 v[6:7], -v[15:16], v[10:11], v[12:13]
	v_fma_f64 v[12:13], v[4:5], v[10:11], -v[0:1]
	v_fma_f64 v[10:11], v[4:5], v[10:11], v[0:1]
	v_fma_f64 v[0:1], -v[4:5], v[8:9], v[2:3]
	v_fma_f64 v[4:5], v[4:5], v[8:9], v[6:7]
	v_fma_f64 v[6:7], v[15:16], v[8:9], v[12:13]
	;; [unrolled: 1-line block ×3, first 2 shown]
	ds_write_b128 v14, v[4:7] offset:55296
.LBB0_17:
	s_andn2_saveexec_b32 s0, s5
	s_cbranch_execz .LBB0_19
; %bb.18:
	v_mov_b32_e32 v8, 0
	ds_read_b128 v[4:7], v8 offset:27648
	s_waitcnt lgkmcnt(0)
	v_add_f64 v[4:5], v[4:5], v[4:5]
	v_mul_f64 v[6:7], v[6:7], -2.0
	ds_write_b128 v8, v[4:7] offset:27648
.LBB0_19:
	s_or_b32 exec_lo, exec_lo, s0
	v_add_nc_u32_e32 v118, 0x90, v114
	v_mov_b32_e32 v119, 0
	v_add_nc_u32_e32 v108, 0x120, v114
	v_add_nc_u32_e32 v120, 0x1b0, v114
	ds_write_b128 v139, v[0:3]
	v_and_b32_e32 v110, 0xff, v114
	v_lshlrev_b64 v[4:5], 4, v[118:119]
	v_mov_b32_e32 v109, v119
	v_mov_b32_e32 v121, v119
	v_mov_b32_e32 v122, v119
	v_mov_b32_e32 v123, v119
	s_mov_b32 s6, 0xe8584caa
	v_add_co_u32 v4, s0, s1, v4
	v_add_co_ci_u32_e64 v5, s0, s4, v5, s0
	v_lshlrev_b64 v[8:9], 4, v[108:109]
	v_lshlrev_b64 v[12:13], 4, v[120:121]
	v_add_nc_u32_e32 v121, 0x240, v114
	global_load_dwordx4 v[4:7], v[4:5], off
	s_mov_b32 s7, 0xbfebb67a
	s_mov_b32 s5, 0x3febb67a
	v_add_co_u32 v8, s0, s1, v8
	v_add_co_ci_u32_e64 v9, s0, s4, v9, s0
	v_add_co_u32 v12, s0, s1, v12
	v_add_co_ci_u32_e64 v13, s0, s4, v13, s0
	global_load_dwordx4 v[8:11], v[8:9], off
	v_mul_u32_u24_e32 v115, 6, v114
	v_mov_b32_e32 v109, 5
	global_load_dwordx4 v[15:18], v[12:13], off
	v_lshlrev_b64 v[12:13], 4, v[121:122]
	ds_read_b128 v[0:3], v139 offset:2304
	ds_read_b128 v[19:22], v14 offset:52992
	v_add_nc_u32_e32 v122, 0x2d0, v114
	v_lshl_add_u32 v115, v115, 4, 0
	v_add_co_u32 v12, s0, s1, v12
	v_add_co_ci_u32_e64 v13, s0, s4, v13, s0
	global_load_dwordx4 v[23:26], v[12:13], off
	s_waitcnt lgkmcnt(0)
	v_add_f64 v[12:13], v[0:1], v[19:20]
	v_add_f64 v[27:28], v[21:22], v[2:3]
	v_add_f64 v[29:30], v[0:1], -v[19:20]
	v_add_f64 v[0:1], v[2:3], -v[21:22]
	s_waitcnt vmcnt(3)
	v_fma_f64 v[2:3], v[29:30], v[6:7], v[12:13]
	v_fma_f64 v[19:20], v[27:28], v[6:7], v[0:1]
	v_fma_f64 v[12:13], -v[29:30], v[6:7], v[12:13]
	v_fma_f64 v[6:7], v[27:28], v[6:7], -v[0:1]
	v_fma_f64 v[0:1], -v[27:28], v[4:5], v[2:3]
	v_fma_f64 v[2:3], v[29:30], v[4:5], v[19:20]
	v_fma_f64 v[19:20], v[27:28], v[4:5], v[12:13]
	v_fma_f64 v[21:22], v[29:30], v[4:5], v[6:7]
	v_lshlrev_b64 v[4:5], 4, v[122:123]
	ds_write_b128 v139, v[0:3] offset:2304
	ds_write_b128 v14, v[19:22] offset:52992
	v_add_co_u32 v12, s0, s1, v4
	v_add_co_ci_u32_e64 v13, s0, s4, v5, s0
	ds_read_b128 v[0:3], v139 offset:4608
	ds_read_b128 v[4:7], v14 offset:50688
	global_load_dwordx4 v[19:22], v[12:13], off
	s_waitcnt lgkmcnt(0)
	v_add_f64 v[12:13], v[0:1], v[4:5]
	v_add_f64 v[27:28], v[6:7], v[2:3]
	v_add_f64 v[29:30], v[0:1], -v[4:5]
	v_add_f64 v[0:1], v[2:3], -v[6:7]
	s_waitcnt vmcnt(3)
	v_fma_f64 v[2:3], v[29:30], v[10:11], v[12:13]
	v_fma_f64 v[4:5], v[27:28], v[10:11], v[0:1]
	v_fma_f64 v[6:7], -v[29:30], v[10:11], v[12:13]
	v_fma_f64 v[10:11], v[27:28], v[10:11], -v[0:1]
	v_fma_f64 v[0:1], -v[27:28], v[8:9], v[2:3]
	v_fma_f64 v[2:3], v[29:30], v[8:9], v[4:5]
	v_fma_f64 v[4:5], v[27:28], v[8:9], v[6:7]
	v_fma_f64 v[6:7], v[29:30], v[8:9], v[10:11]
	v_add_nc_u32_e32 v8, 0x360, v114
	v_mov_b32_e32 v9, v119
	ds_write_b128 v139, v[0:3] offset:4608
	ds_write_b128 v14, v[4:7] offset:50688
	v_lshlrev_b64 v[8:9], 4, v[8:9]
	ds_read_b128 v[0:3], v139 offset:6912
	ds_read_b128 v[4:7], v14 offset:48384
	v_add_co_u32 v8, s0, s1, v8
	v_add_co_ci_u32_e64 v9, s0, s4, v9, s0
	global_load_dwordx4 v[8:11], v[8:9], off
	s_waitcnt lgkmcnt(0)
	v_add_f64 v[12:13], v[0:1], v[4:5]
	v_add_f64 v[27:28], v[6:7], v[2:3]
	v_add_f64 v[29:30], v[0:1], -v[4:5]
	v_add_f64 v[0:1], v[2:3], -v[6:7]
	s_waitcnt vmcnt(3)
	v_fma_f64 v[2:3], v[29:30], v[17:18], v[12:13]
	v_fma_f64 v[4:5], v[27:28], v[17:18], v[0:1]
	v_fma_f64 v[6:7], -v[29:30], v[17:18], v[12:13]
	v_fma_f64 v[12:13], v[27:28], v[17:18], -v[0:1]
	v_fma_f64 v[0:1], -v[27:28], v[15:16], v[2:3]
	v_fma_f64 v[2:3], v[29:30], v[15:16], v[4:5]
	v_fma_f64 v[4:5], v[27:28], v[15:16], v[6:7]
	v_fma_f64 v[6:7], v[29:30], v[15:16], v[12:13]
	v_add_nc_u32_e32 v12, 0x3f0, v114
	v_mov_b32_e32 v13, v119
	ds_write_b128 v139, v[0:3] offset:6912
	ds_write_b128 v14, v[4:7] offset:48384
	v_lshlrev_b64 v[12:13], 4, v[12:13]
	ds_read_b128 v[0:3], v139 offset:9216
	ds_read_b128 v[4:7], v14 offset:46080
	v_add_co_u32 v12, s0, s1, v12
	v_add_co_ci_u32_e64 v13, s0, s4, v13, s0
	;; [unrolled: 24-line block ×6, first 2 shown]
	s_mov_b32 s4, s6
	v_cmp_gt_u32_e64 s0, 0x48, v114
	global_load_dwordx4 v[0:3], v[12:13], off
	s_waitcnt lgkmcnt(0)
	v_add_f64 v[12:13], v[4:5], v[15:16]
	v_add_f64 v[27:28], v[17:18], v[6:7]
	v_add_f64 v[29:30], v[4:5], -v[15:16]
	v_add_f64 v[4:5], v[6:7], -v[17:18]
	s_waitcnt vmcnt(3)
	v_fma_f64 v[6:7], v[29:30], v[25:26], v[12:13]
	v_fma_f64 v[15:16], v[27:28], v[25:26], v[4:5]
	v_fma_f64 v[12:13], -v[29:30], v[25:26], v[12:13]
	v_fma_f64 v[17:18], v[27:28], v[25:26], -v[4:5]
	v_fma_f64 v[4:5], -v[27:28], v[23:24], v[6:7]
	v_fma_f64 v[6:7], v[29:30], v[23:24], v[15:16]
	v_fma_f64 v[15:16], v[27:28], v[23:24], v[12:13]
	v_fma_f64 v[17:18], v[29:30], v[23:24], v[17:18]
	ds_write_b128 v139, v[4:7] offset:18432
	ds_write_b128 v14, v[15:18] offset:36864
	ds_read_b128 v[4:7], v139 offset:20736
	ds_read_b128 v[15:18], v14 offset:34560
	s_waitcnt lgkmcnt(0)
	v_add_f64 v[12:13], v[4:5], v[15:16]
	v_add_f64 v[23:24], v[17:18], v[6:7]
	v_add_f64 v[25:26], v[4:5], -v[15:16]
	v_add_f64 v[4:5], v[6:7], -v[17:18]
	s_waitcnt vmcnt(2)
	v_fma_f64 v[6:7], v[25:26], v[21:22], v[12:13]
	v_fma_f64 v[15:16], v[23:24], v[21:22], v[4:5]
	v_fma_f64 v[12:13], -v[25:26], v[21:22], v[12:13]
	v_fma_f64 v[17:18], v[23:24], v[21:22], -v[4:5]
	v_fma_f64 v[4:5], -v[23:24], v[19:20], v[6:7]
	v_fma_f64 v[6:7], v[25:26], v[19:20], v[15:16]
	v_fma_f64 v[15:16], v[23:24], v[19:20], v[12:13]
	v_fma_f64 v[17:18], v[25:26], v[19:20], v[17:18]
	ds_write_b128 v139, v[4:7] offset:20736
	ds_write_b128 v14, v[15:18] offset:34560
	ds_read_b128 v[4:7], v139 offset:23040
	ds_read_b128 v[15:18], v14 offset:32256
	;; [unrolled: 18-line block ×3, first 2 shown]
	s_waitcnt lgkmcnt(0)
	v_add_f64 v[15:16], v[6:7], v[10:11]
	v_add_f64 v[4:5], v[12:13], v[8:9]
	v_add_f64 v[6:7], v[6:7], -v[10:11]
	v_add_f64 v[17:18], v[8:9], -v[12:13]
	s_waitcnt vmcnt(0)
	v_fma_f64 v[8:9], v[6:7], v[2:3], v[15:16]
	v_fma_f64 v[10:11], v[4:5], v[2:3], v[17:18]
	v_fma_f64 v[12:13], -v[6:7], v[2:3], v[15:16]
	v_fma_f64 v[2:3], v[4:5], v[2:3], -v[17:18]
	v_fma_f64 v[8:9], -v[4:5], v[0:1], v[8:9]
	v_fma_f64 v[10:11], v[6:7], v[0:1], v[10:11]
	v_fma_f64 v[4:5], v[4:5], v[0:1], v[12:13]
	;; [unrolled: 1-line block ×3, first 2 shown]
	v_mul_lo_u16 v0, 0xab, v110
	ds_write_b128 v139, v[8:11] offset:25344
	ds_write_b128 v14, v[4:7] offset:29952
	v_lshrrev_b16 v111, 10, v0
	s_waitcnt lgkmcnt(0)
	s_barrier
	buffer_gl0_inv
	v_mul_lo_u16 v0, v111, 6
	s_barrier
	buffer_gl0_inv
	v_sub_nc_u16 v123, v114, v0
	ds_read_b128 v[0:3], v139
	ds_read_b128 v[4:7], v139 offset:18432
	ds_read_b128 v[8:11], v139 offset:36864
	;; [unrolled: 1-line block ×23, first 2 shown]
	s_waitcnt lgkmcnt(22)
	v_add_f64 v[96:97], v[0:1], v[4:5]
	s_waitcnt lgkmcnt(21)
	v_add_f64 v[100:101], v[4:5], v[8:9]
	v_add_f64 v[106:107], v[4:5], -v[8:9]
	s_waitcnt lgkmcnt(19)
	v_add_f64 v[4:5], v[16:17], v[12:13]
	s_waitcnt lgkmcnt(18)
	v_add_f64 v[124:125], v[12:13], v[20:21]
	v_add_f64 v[130:131], v[12:13], -v[20:21]
	s_waitcnt lgkmcnt(15)
	v_add_f64 v[12:13], v[24:25], v[32:33]
	v_add_f64 v[102:103], v[6:7], v[10:11]
	;; [unrolled: 1-line block ×4, first 2 shown]
	v_add_f64 v[104:105], v[6:7], -v[10:11]
	v_add_f64 v[6:7], v[18:19], v[14:15]
	v_add_f64 v[128:129], v[14:15], -v[22:23]
	v_add_f64 v[14:15], v[26:27], v[34:35]
	s_waitcnt lgkmcnt(13)
	v_add_f64 v[132:133], v[32:33], v[40:41]
	v_add_f64 v[32:33], v[32:33], -v[40:41]
	v_add_f64 v[148:149], v[30:31], v[38:39]
	s_waitcnt lgkmcnt(9)
	v_add_f64 v[140:141], v[50:51], v[58:59]
	s_waitcnt lgkmcnt(7)
	v_add_f64 v[144:145], v[58:59], -v[66:67]
	v_add_f64 v[58:59], v[58:59], v[66:67]
	s_waitcnt lgkmcnt(6)
	v_add_f64 v[156:157], v[62:63], -v[70:71]
	v_add_f64 v[134:135], v[34:35], -v[42:43]
	v_add_f64 v[8:9], v[96:97], v[8:9]
	v_add_f64 v[96:97], v[54:55], v[62:63]
	v_fma_f64 v[100:101], v[100:101], -0.5, v[0:1]
	v_add_f64 v[4:5], v[4:5], v[20:21]
	s_waitcnt lgkmcnt(4)
	v_add_f64 v[20:21], v[74:75], v[78:79]
	v_add_f64 v[0:1], v[62:63], v[70:71]
	;; [unrolled: 1-line block ×3, first 2 shown]
	s_waitcnt lgkmcnt(1)
	v_add_f64 v[40:41], v[86:87], v[90:91]
	v_fma_f64 v[102:103], v[102:103], -0.5, v[2:3]
	v_add_f64 v[2:3], v[72:73], v[76:77]
	v_fma_f64 v[62:63], v[124:125], -0.5, v[16:17]
	v_fma_f64 v[124:125], v[126:127], -0.5, v[18:19]
	v_add_f64 v[18:19], v[84:85], v[88:89]
	v_add_f64 v[34:35], v[34:35], v[42:43]
	;; [unrolled: 1-line block ×3, first 2 shown]
	v_add_f64 v[126:127], v[78:79], -v[82:83]
	v_add_f64 v[16:17], v[78:79], v[82:83]
	v_add_f64 v[14:15], v[14:15], v[42:43]
	s_waitcnt lgkmcnt(0)
	v_add_f64 v[42:43], v[88:89], v[92:93]
	v_add_f64 v[78:79], v[90:91], -v[94:95]
	v_add_f64 v[90:91], v[90:91], v[94:95]
	v_add_f64 v[146:147], v[28:29], v[36:37]
	v_add_f64 v[152:153], v[38:39], -v[46:47]
	v_add_f64 v[38:39], v[38:39], v[46:47]
	v_add_f64 v[154:155], v[52:53], v[60:61]
	;; [unrolled: 1-line block ×10, first 2 shown]
	v_add_f64 v[56:57], v[56:57], -v[64:65]
	v_add_f64 v[10:11], v[98:99], v[10:11]
	v_add_f64 v[98:99], v[60:61], v[68:69]
	v_add_f64 v[76:77], v[76:77], -v[80:81]
	v_add_f64 v[88:89], v[88:89], -v[92:93]
	v_add_f64 v[80:81], v[2:3], v[80:81]
	v_add_f64 v[92:93], v[18:19], v[92:93]
	v_fma_f64 v[50:51], v[58:59], -0.5, v[50:51]
	v_add_f64 v[60:61], v[60:61], -v[68:69]
	v_fma_f64 v[54:55], v[0:1], -0.5, v[54:55]
	v_fma_f64 v[94:95], v[132:133], -0.5, v[24:25]
	;; [unrolled: 1-line block ×6, first 2 shown]
	v_add_f64 v[36:37], v[36:37], -v[44:45]
	v_add_f64 v[44:45], v[146:147], v[44:45]
	v_add_f64 v[68:69], v[154:155], v[68:69]
	v_fma_f64 v[38:39], v[38:39], -0.5, v[30:31]
	v_add_f64 v[26:27], v[82:83], v[40:41]
	v_add_f64 v[30:31], v[82:83], -v[40:41]
	v_fma_f64 v[40:41], v[130:131], s[4:5], v[124:125]
	v_fma_f64 v[58:59], v[150:151], -0.5, v[28:29]
	v_fma_f64 v[72:73], v[22:23], -0.5, v[72:73]
	v_add_f64 v[18:19], v[46:47], v[70:71]
	v_add_f64 v[22:23], v[46:47], -v[70:71]
	v_fma_f64 v[46:47], v[130:131], s[6:7], v[124:125]
	v_add_f64 v[64:65], v[136:137], v[64:65]
	v_add_f64 v[66:67], v[140:141], v[66:67]
	v_fma_f64 v[52:53], v[98:99], -0.5, v[52:53]
	v_add_f64 v[24:25], v[80:81], v[92:93]
	v_add_f64 v[28:29], v[80:81], -v[92:93]
	v_fma_f64 v[80:81], v[56:57], s[4:5], v[50:51]
	v_fma_f64 v[50:51], v[56:57], s[6:7], v[50:51]
	v_fma_f64 v[92:93], v[60:61], s[4:5], v[54:55]
	v_fma_f64 v[56:57], v[134:135], s[6:7], v[94:95]
	v_fma_f64 v[86:87], v[134:135], s[4:5], v[94:95]
	v_fma_f64 v[90:91], v[32:33], s[4:5], v[34:35]
	v_fma_f64 v[94:95], v[32:33], s[6:7], v[34:35]
	v_fma_f64 v[32:33], v[60:61], s[6:7], v[54:55]
	v_fma_f64 v[82:83], v[144:145], s[6:7], v[48:49]
	v_fma_f64 v[34:35], v[144:145], s[4:5], v[48:49]
	v_fma_f64 v[48:49], v[88:89], s[4:5], v[84:85]
	v_fma_f64 v[60:61], v[88:89], s[6:7], v[84:85]
	v_fma_f64 v[74:75], v[16:17], -0.5, v[74:75]
	v_add_f64 v[16:17], v[44:45], v[68:69]
	v_add_f64 v[20:21], v[44:45], -v[68:69]
	v_fma_f64 v[44:45], v[128:129], s[6:7], v[62:63]
	v_mul_f64 v[88:89], v[40:41], s[6:7]
	v_mul_f64 v[40:41], v[40:41], 0.5
	v_fma_f64 v[62:63], v[128:129], s[4:5], v[62:63]
	v_fma_f64 v[84:85], v[152:153], s[6:7], v[58:59]
	;; [unrolled: 1-line block ×3, first 2 shown]
	v_mul_f64 v[58:59], v[46:47], s[6:7]
	v_mul_f64 v[46:47], v[46:47], -0.5
	v_add_f64 v[0:1], v[8:9], v[4:5]
	v_add_f64 v[2:3], v[10:11], v[6:7]
	v_add_f64 v[4:5], v[8:9], -v[4:5]
	v_add_f64 v[6:7], v[10:11], -v[6:7]
	v_add_f64 v[8:9], v[12:13], v[64:65]
	v_add_f64 v[10:11], v[14:15], v[66:67]
	v_add_f64 v[12:13], v[12:13], -v[64:65]
	v_add_f64 v[14:15], v[14:15], -v[66:67]
	v_fma_f64 v[64:65], v[104:105], s[6:7], v[100:101]
	v_fma_f64 v[66:67], v[104:105], s[4:5], v[100:101]
	;; [unrolled: 1-line block ×6, first 2 shown]
	v_mul_f64 v[38:39], v[80:81], s[6:7]
	v_mul_f64 v[52:53], v[80:81], 0.5
	v_fma_f64 v[80:81], v[78:79], s[6:7], v[42:43]
	v_fma_f64 v[42:43], v[78:79], s[4:5], v[42:43]
	v_mul_f64 v[78:79], v[50:51], s[6:7]
	v_mul_f64 v[50:51], v[50:51], -0.5
	v_fma_f64 v[68:69], v[106:107], s[4:5], v[102:103]
	v_fma_f64 v[70:71], v[106:107], s[6:7], v[102:103]
	v_mul_f64 v[102:103], v[92:93], s[6:7]
	v_mul_f64 v[92:93], v[92:93], 0.5
	v_mul_f64 v[104:105], v[32:33], s[6:7]
	v_mul_f64 v[32:33], v[32:33], -0.5
	v_mul_f64 v[106:107], v[48:49], s[6:7]
	v_mul_f64 v[48:49], v[48:49], 0.5
	v_mul_f64 v[124:125], v[60:61], s[6:7]
	v_mul_f64 v[60:61], v[60:61], -0.5
	v_fma_f64 v[88:89], v[44:45], 0.5, v[88:89]
	v_fma_f64 v[40:41], v[44:45], s[4:5], v[40:41]
	v_fma_f64 v[44:45], v[62:63], -0.5, v[58:59]
	v_fma_f64 v[46:47], v[62:63], s[4:5], v[46:47]
	v_fma_f64 v[128:129], v[126:127], s[6:7], v[72:73]
	;; [unrolled: 1-line block ×3, first 2 shown]
	v_fma_f64 v[58:59], v[82:83], 0.5, v[38:39]
	v_fma_f64 v[52:53], v[82:83], s[4:5], v[52:53]
	v_fma_f64 v[130:131], v[76:77], s[4:5], v[74:75]
	;; [unrolled: 1-line block ×3, first 2 shown]
	v_fma_f64 v[62:63], v[34:35], -0.5, v[78:79]
	v_fma_f64 v[72:73], v[34:35], s[4:5], v[50:51]
	s_barrier
	v_fma_f64 v[74:75], v[54:55], 0.5, v[102:103]
	v_fma_f64 v[76:77], v[54:55], s[4:5], v[92:93]
	v_fma_f64 v[78:79], v[36:37], -0.5, v[104:105]
	v_fma_f64 v[82:83], v[36:37], s[4:5], v[32:33]
	v_fma_f64 v[92:93], v[80:81], 0.5, v[106:107]
	v_fma_f64 v[80:81], v[80:81], s[4:5], v[48:49]
	v_fma_f64 v[102:103], v[42:43], -0.5, v[124:125]
	v_fma_f64 v[104:105], v[42:43], s[4:5], v[60:61]
	buffer_gl0_inv
	ds_write_b128 v115, v[0:3]
	ds_write_b128 v115, v[4:7] offset:48
	v_add_f64 v[0:1], v[64:65], v[88:89]
	v_add_f64 v[2:3], v[68:69], v[40:41]
	;; [unrolled: 1-line block ×4, first 2 shown]
	v_add_f64 v[4:5], v[64:65], -v[88:89]
	v_add_f64 v[6:7], v[68:69], -v[40:41]
	;; [unrolled: 1-line block ×4, first 2 shown]
	v_add_f64 v[40:41], v[56:57], v[58:59]
	v_add_f64 v[42:43], v[90:91], v[52:53]
	;; [unrolled: 1-line block ×4, first 2 shown]
	v_mul_u32_u24_sdwa v136, v123, v109 dst_sel:DWORD dst_unused:UNUSED_PAD src0_sel:BYTE_0 src1_sel:DWORD
	v_add_f64 v[44:45], v[56:57], -v[58:59]
	v_add_f64 v[46:47], v[90:91], -v[52:53]
	;; [unrolled: 1-line block ×4, first 2 shown]
	v_add_f64 v[56:57], v[84:85], v[74:75]
	v_add_f64 v[58:59], v[98:99], v[76:77]
	;; [unrolled: 1-line block ×4, first 2 shown]
	v_add_f64 v[60:61], v[84:85], -v[74:75]
	v_add_f64 v[62:63], v[98:99], -v[76:77]
	v_lshlrev_b32_e32 v136, 4, v136
	v_add_f64 v[68:69], v[96:97], -v[78:79]
	v_add_f64 v[70:71], v[100:101], -v[82:83]
	v_add_f64 v[72:73], v[128:129], v[92:93]
	v_add_f64 v[74:75], v[130:131], v[80:81]
	v_add_f64 v[78:79], v[130:131], -v[80:81]
	v_add_f64 v[80:81], v[126:127], v[102:103]
	v_add_f64 v[82:83], v[132:133], v[104:105]
	v_add_f64 v[76:77], v[128:129], -v[92:93]
	v_add_f64 v[84:85], v[126:127], -v[102:103]
	;; [unrolled: 1-line block ×3, first 2 shown]
	ds_write_b128 v115, v[8:11] offset:13824
	ds_write_b128 v115, v[12:15] offset:13872
	;; [unrolled: 1-line block ×22, first 2 shown]
	s_waitcnt lgkmcnt(0)
	s_barrier
	buffer_gl0_inv
	s_clause 0x1
	global_load_dwordx4 v[40:43], v136, s[12:13]
	global_load_dwordx4 v[56:59], v136, s[12:13] offset:16
	v_mov_b32_e32 v0, 0xaaab
	s_clause 0x1
	global_load_dwordx4 v[52:55], v136, s[12:13] offset:32
	global_load_dwordx4 v[44:47], v136, s[12:13] offset:48
	v_mov_b32_e32 v115, 4
	v_mul_u32_u24_sdwa v1, v118, v0 dst_sel:DWORD dst_unused:UNUSED_PAD src0_sel:WORD_0 src1_sel:DWORD
	v_mul_u32_u24_sdwa v2, v108, v0 dst_sel:DWORD dst_unused:UNUSED_PAD src0_sel:WORD_0 src1_sel:DWORD
	;; [unrolled: 1-line block ×3, first 2 shown]
	v_lshrrev_b32_e32 v125, 18, v1
	v_lshrrev_b32_e32 v127, 18, v2
	;; [unrolled: 1-line block ×3, first 2 shown]
	v_mul_lo_u16 v1, v125, 6
	v_mul_lo_u16 v2, v127, 6
	;; [unrolled: 1-line block ×3, first 2 shown]
	v_mul_u32_u24_e32 v129, 0x240, v129
	v_sub_nc_u16 v124, v118, v1
	v_sub_nc_u16 v126, v108, v2
	;; [unrolled: 1-line block ×3, first 2 shown]
	v_mul_u32_u24_sdwa v1, v124, v109 dst_sel:DWORD dst_unused:UNUSED_PAD src0_sel:WORD_0 src1_sel:DWORD
	v_mul_u32_u24_sdwa v0, v128, v109 dst_sel:DWORD dst_unused:UNUSED_PAD src0_sel:WORD_0 src1_sel:DWORD
	v_lshlrev_b32_e32 v1, 4, v1
	s_clause 0x5
	global_load_dwordx4 v[48:51], v136, s[12:13] offset:64
	global_load_dwordx4 v[60:63], v1, s[12:13]
	global_load_dwordx4 v[64:67], v1, s[12:13] offset:16
	global_load_dwordx4 v[68:71], v1, s[12:13] offset:32
	;; [unrolled: 1-line block ×4, first 2 shown]
	v_mul_u32_u24_sdwa v1, v126, v109 dst_sel:DWORD dst_unused:UNUSED_PAD src0_sel:WORD_0 src1_sel:DWORD
	v_lshlrev_b32_e32 v36, 4, v0
	v_lshlrev_b32_e32 v1, 4, v1
	s_clause 0x9
	global_load_dwordx4 v[4:7], v1, s[12:13]
	global_load_dwordx4 v[28:31], v1, s[12:13] offset:16
	global_load_dwordx4 v[20:23], v1, s[12:13] offset:32
	;; [unrolled: 1-line block ×4, first 2 shown]
	global_load_dwordx4 v[0:3], v36, s[12:13]
	global_load_dwordx4 v[12:15], v36, s[12:13] offset:16
	global_load_dwordx4 v[24:27], v36, s[12:13] offset:32
	global_load_dwordx4 v[32:35], v36, s[12:13] offset:48
	global_load_dwordx4 v[36:39], v36, s[12:13] offset:64
	ds_read_b128 v[104:107], v139 offset:9216
	ds_read_b128 v[100:103], v139 offset:18432
	ds_read_b128 v[96:99], v139 offset:27648
	ds_read_b128 v[80:83], v139 offset:6912
	ds_read_b128 v[130:133], v139 offset:36864
	ds_read_b128 v[92:95], v139 offset:16128
	ds_read_b128 v[134:137], v139 offset:46080
	ds_read_b128 v[88:91], v139 offset:25344
	ds_read_b128 v[84:87], v139 offset:34560
	ds_read_b128 v[142:145], v139 offset:13824
	s_waitcnt vmcnt(19) lgkmcnt(9)
	v_mul_f64 v[140:141], v[106:107], v[42:43]
	v_mul_f64 v[42:43], v[104:105], v[42:43]
	s_waitcnt vmcnt(18) lgkmcnt(8)
	v_mul_f64 v[146:147], v[102:103], v[58:59]
	v_mul_f64 v[148:149], v[100:101], v[58:59]
	s_waitcnt vmcnt(17) lgkmcnt(7)
	v_mul_f64 v[150:151], v[98:99], v[54:55]
	v_mul_f64 v[152:153], v[96:97], v[54:55]
	v_fma_f64 v[54:55], v[104:105], v[40:41], v[140:141]
	v_fma_f64 v[58:59], v[106:107], v[40:41], -v[42:43]
	ds_read_b128 v[104:107], v139 offset:11520
	ds_read_b128 v[40:43], v139 offset:43776
	s_waitcnt vmcnt(16) lgkmcnt(7)
	v_mul_f64 v[140:141], v[132:133], v[46:47]
	v_mul_f64 v[46:47], v[130:131], v[46:47]
	v_fma_f64 v[100:101], v[100:101], v[56:57], v[146:147]
	v_fma_f64 v[56:57], v[102:103], v[56:57], -v[148:149]
	ds_read_b128 v[146:149], v139 offset:20736
	v_fma_f64 v[96:97], v[96:97], v[52:53], v[150:151]
	s_waitcnt vmcnt(15) lgkmcnt(6)
	v_mul_f64 v[102:103], v[136:137], v[50:51]
	v_mul_f64 v[154:155], v[134:135], v[50:51]
	v_fma_f64 v[50:51], v[98:99], v[52:53], -v[152:153]
	s_waitcnt vmcnt(14) lgkmcnt(2)
	v_mul_f64 v[156:157], v[106:107], v[62:63]
	v_mul_f64 v[158:159], v[104:105], v[62:63]
	v_fma_f64 v[98:99], v[130:131], v[44:45], v[140:141]
	v_fma_f64 v[62:63], v[132:133], v[44:45], -v[46:47]
	ds_read_b128 v[130:133], v139 offset:29952
	ds_read_b128 v[150:153], v139 offset:23040
	s_waitcnt vmcnt(13) lgkmcnt(2)
	v_mul_f64 v[140:141], v[146:147], v[66:67]
	v_fma_f64 v[52:53], v[134:135], v[48:49], v[102:103]
	v_mul_f64 v[102:103], v[148:149], v[66:67]
	v_fma_f64 v[48:49], v[136:137], v[48:49], -v[154:155]
	ds_read_b128 v[134:137], v139 offset:32256
	v_fma_f64 v[44:45], v[104:105], v[60:61], v[156:157]
	v_fma_f64 v[46:47], v[106:107], v[60:61], -v[158:159]
	ds_read_b128 v[104:107], v139 offset:39168
	s_waitcnt vmcnt(12) lgkmcnt(3)
	v_mul_f64 v[60:61], v[132:133], v[70:71]
	v_mul_f64 v[154:155], v[130:131], v[70:71]
	v_mul_u32_u24_e32 v158, 0x240, v125
	v_fma_f64 v[70:71], v[148:149], v[64:65], -v[140:141]
	v_fma_f64 v[66:67], v[146:147], v[64:65], v[102:103]
	ds_read_b128 v[146:149], v139 offset:41472
	s_waitcnt vmcnt(11) lgkmcnt(1)
	v_mul_f64 v[64:65], v[106:107], v[74:75]
	v_mul_f64 v[140:141], v[104:105], v[74:75]
	v_fma_f64 v[102:103], v[130:131], v[68:69], v[60:61]
	v_fma_f64 v[74:75], v[132:133], v[68:69], -v[154:155]
	ds_read_b128 v[130:133], v139 offset:48384
	ds_read_b128 v[154:157], v139 offset:50688
	v_fma_f64 v[64:65], v[104:105], v[72:73], v[64:65]
	v_fma_f64 v[60:61], v[106:107], v[72:73], -v[140:141]
	s_waitcnt vmcnt(10) lgkmcnt(1)
	v_mul_f64 v[72:73], v[130:131], v[78:79]
	v_mul_f64 v[68:69], v[132:133], v[78:79]
	s_waitcnt vmcnt(9)
	v_mul_f64 v[78:79], v[144:145], v[6:7]
	v_mul_f64 v[104:105], v[142:143], v[6:7]
	v_mul_lo_u16 v106, v110, 57
	v_lshrrev_b16 v141, 11, v106
	s_waitcnt vmcnt(6)
	v_mul_f64 v[106:107], v[148:149], v[18:19]
	v_mul_f64 v[18:19], v[146:147], v[18:19]
	v_fma_f64 v[6:7], v[132:133], v[76:77], -v[72:73]
	v_mul_f64 v[72:73], v[152:153], v[30:31]
	v_mul_f64 v[30:31], v[150:151], v[30:31]
	v_fma_f64 v[68:69], v[130:131], v[76:77], v[68:69]
	v_mov_b32_e32 v76, 0x240
	v_fma_f64 v[78:79], v[142:143], v[4:5], v[78:79]
	v_fma_f64 v[104:105], v[144:145], v[4:5], -v[104:105]
	v_mul_lo_u16 v4, v141, 36
	v_mul_u32_u24_e32 v144, 0x240, v127
	v_mul_u32_u24_sdwa v138, v111, v76 dst_sel:DWORD dst_unused:UNUSED_PAD src0_sel:WORD_0 src1_sel:DWORD
	v_mul_f64 v[76:77], v[136:137], v[22:23]
	v_mul_f64 v[22:23], v[134:135], v[22:23]
	s_waitcnt vmcnt(5) lgkmcnt(0)
	v_mul_f64 v[110:111], v[156:157], v[10:11]
	v_mul_f64 v[10:11], v[154:155], v[10:11]
	v_sub_nc_u16 v140, v114, v4
	v_lshlrev_b32_sdwa v145, v115, v123 dst_sel:DWORD dst_unused:UNUSED_PAD src0_sel:DWORD src1_sel:BYTE_0
	v_fma_f64 v[106:107], v[146:147], v[16:17], v[106:107]
	s_waitcnt vmcnt(2)
	v_mul_f64 v[132:133], v[86:87], v[26:27]
	v_mul_f64 v[26:27], v[84:85], v[26:27]
	v_fma_f64 v[18:19], v[148:149], v[16:17], -v[18:19]
	v_add3_u32 v138, 0, v138, v145
	v_fma_f64 v[72:73], v[150:151], v[28:29], v[72:73]
	v_fma_f64 v[130:131], v[152:153], v[28:29], -v[30:31]
	ds_read_b128 v[28:31], v139 offset:52992
	v_lshlrev_b32_sdwa v150, v115, v124 dst_sel:DWORD dst_unused:UNUSED_PAD src0_sel:DWORD src1_sel:WORD_0
	v_lshlrev_b32_sdwa v151, v115, v126 dst_sel:DWORD dst_unused:UNUSED_PAD src0_sel:DWORD src1_sel:WORD_0
	v_mul_f64 v[123:124], v[94:95], v[2:3]
	v_lshlrev_b32_sdwa v152, v115, v128 dst_sel:DWORD dst_unused:UNUSED_PAD src0_sel:DWORD src1_sel:WORD_0
	v_mul_f64 v[125:126], v[90:91], v[14:15]
	v_mul_f64 v[127:128], v[88:89], v[14:15]
	v_fma_f64 v[76:77], v[134:135], v[20:21], v[76:77]
	v_fma_f64 v[20:21], v[136:137], v[20:21], -v[22:23]
	v_mul_f64 v[22:23], v[92:93], v[2:3]
	ds_read_b128 v[2:5], v139
	s_waitcnt vmcnt(1)
	v_mul_f64 v[134:135], v[42:43], v[34:35]
	v_mul_f64 v[34:35], v[40:41], v[34:35]
	v_fma_f64 v[110:111], v[154:155], v[8:9], v[110:111]
	v_fma_f64 v[136:137], v[156:157], v[8:9], -v[10:11]
	ds_read_b128 v[8:11], v139 offset:2304
	ds_read_b128 v[14:17], v139 offset:4608
	v_fma_f64 v[84:85], v[84:85], v[24:25], v[132:133]
	v_fma_f64 v[24:25], v[86:87], v[24:25], -v[26:27]
	v_add_f64 v[86:87], v[56:57], v[62:63]
	v_add_f64 v[132:133], v[44:45], v[102:103]
	s_waitcnt vmcnt(0) lgkmcnt(3)
	v_mul_f64 v[142:143], v[30:31], v[38:39]
	v_mul_f64 v[38:39], v[28:29], v[38:39]
	v_add3_u32 v159, 0, v144, v151
	v_mul_u32_u24_sdwa v153, v140, v109 dst_sel:DWORD dst_unused:UNUSED_PAD src0_sel:BYTE_0 src1_sel:DWORD
	v_add3_u32 v160, 0, v129, v152
	v_fma_f64 v[92:93], v[92:93], v[0:1], v[123:124]
	v_add_f64 v[123:124], v[58:59], v[50:51]
	v_add3_u32 v158, 0, v158, v150
	v_lshlrev_b32_e32 v161, 4, v153
	v_add_f64 v[146:147], v[78:79], v[76:77]
	v_add_f64 v[148:149], v[104:105], v[20:21]
	v_fma_f64 v[0:1], v[94:95], v[0:1], -v[22:23]
	v_fma_f64 v[22:23], v[88:89], v[12:13], v[125:126]
	v_fma_f64 v[12:13], v[90:91], v[12:13], -v[127:128]
	v_fma_f64 v[26:27], v[40:41], v[32:33], v[134:135]
	v_fma_f64 v[32:33], v[42:43], v[32:33], -v[34:35]
	v_add_f64 v[34:35], v[66:67], v[64:65]
	v_add_f64 v[88:89], v[130:131], v[18:19]
	;; [unrolled: 1-line block ×3, first 2 shown]
	s_waitcnt lgkmcnt(2)
	v_add_f64 v[90:91], v[4:5], v[56:57]
	s_waitcnt lgkmcnt(1)
	v_add_f64 v[125:126], v[8:9], v[66:67]
	v_add_f64 v[127:128], v[10:11], v[70:71]
	v_fma_f64 v[28:29], v[28:29], v[36:37], v[142:143]
	v_fma_f64 v[30:31], v[30:31], v[36:37], -v[38:39]
	v_add_f64 v[36:37], v[2:3], v[100:101]
	v_add_f64 v[38:39], v[72:73], v[106:107]
	;; [unrolled: 1-line block ×3, first 2 shown]
	s_waitcnt lgkmcnt(0)
	v_add_f64 v[142:143], v[14:15], v[72:73]
	v_add_f64 v[100:101], v[100:101], -v[98:99]
	v_add_f64 v[144:145], v[16:17], v[130:131]
	v_add_f64 v[56:57], v[56:57], -v[62:63]
	v_add_f64 v[66:67], v[66:67], -v[64:65]
	v_add_f64 v[42:43], v[70:71], v[60:61]
	v_add_f64 v[152:153], v[20:21], -v[136:137]
	v_add_f64 v[134:135], v[46:47], v[74:75]
	v_fma_f64 v[86:87], v[86:87], -0.5, v[4:5]
	v_add_f64 v[4:5], v[80:81], v[22:23]
	v_add_f64 v[129:130], v[130:131], -v[18:19]
	v_fma_f64 v[34:35], v[34:35], -0.5, v[8:9]
	v_add_f64 v[8:9], v[82:83], v[12:13]
	v_fma_f64 v[88:89], v[88:89], -0.5, v[16:17]
	v_add_f64 v[16:17], v[96:97], v[52:53]
	v_add_f64 v[96:97], v[96:97], -v[52:53]
	v_add_f64 v[52:53], v[94:95], v[52:53]
	v_add_f64 v[94:95], v[74:75], v[6:7]
	;; [unrolled: 1-line block ×4, first 2 shown]
	v_fma_f64 v[38:39], v[38:39], -0.5, v[14:15]
	v_add_f64 v[14:15], v[0:1], v[24:25]
	v_add_f64 v[98:99], v[50:51], v[48:49]
	;; [unrolled: 1-line block ×7, first 2 shown]
	v_fma_f64 v[40:41], v[40:41], -0.5, v[2:3]
	v_add_f64 v[2:3], v[12:13], v[32:33]
	v_add_f64 v[102:103], v[102:103], -v[68:69]
	v_add_f64 v[68:69], v[132:133], v[68:69]
	v_add_f64 v[131:132], v[12:13], -v[32:33]
	v_add_f64 v[156:157], v[24:25], -v[30:31]
	v_add_f64 v[32:33], v[8:9], v[32:33]
	v_add_f64 v[50:51], v[50:51], -v[48:49]
	v_fma_f64 v[54:55], v[16:17], -0.5, v[54:55]
	v_add_f64 v[70:71], v[70:71], -v[60:61]
	v_add_f64 v[48:49], v[123:124], v[48:49]
	v_fma_f64 v[46:47], v[94:95], -0.5, v[46:47]
	v_add_f64 v[123:124], v[76:77], v[110:111]
	v_add_f64 v[76:77], v[76:77], -v[110:111]
	v_fma_f64 v[42:43], v[42:43], -0.5, v[10:11]
	v_add_f64 v[30:31], v[14:15], v[30:31]
	v_fma_f64 v[58:59], v[98:99], -0.5, v[58:59]
	v_fma_f64 v[44:45], v[90:91], -0.5, v[44:45]
	v_add_f64 v[10:11], v[92:93], v[84:85]
	v_fma_f64 v[90:91], v[125:126], -0.5, v[104:105]
	v_add_f64 v[74:75], v[74:75], -v[6:7]
	v_add_f64 v[60:61], v[84:85], v[28:29]
	v_add_f64 v[84:85], v[84:85], -v[28:29]
	v_fma_f64 v[94:95], v[127:128], -0.5, v[0:1]
	v_add_f64 v[150:151], v[22:23], v[26:27]
	v_add_f64 v[154:155], v[22:23], -v[26:27]
	v_add_f64 v[22:23], v[134:135], v[6:7]
	v_add_f64 v[133:134], v[148:149], v[136:137]
	;; [unrolled: 1-line block ×3, first 2 shown]
	v_add_f64 v[72:73], v[72:73], -v[106:107]
	v_add_f64 v[0:1], v[36:37], v[52:53]
	v_add_f64 v[4:5], v[36:37], -v[52:53]
	v_fma_f64 v[82:83], v[2:3], -0.5, v[82:83]
	v_add_f64 v[2:3], v[62:63], v[48:49]
	v_fma_f64 v[78:79], v[123:124], -0.5, v[78:79]
	v_add_f64 v[6:7], v[62:63], -v[48:49]
	v_add_f64 v[8:9], v[64:65], v[68:69]
	v_add_f64 v[26:27], v[32:33], v[30:31]
	v_add_f64 v[30:31], v[32:33], -v[30:31]
	v_fma_f64 v[32:33], v[96:97], s[4:5], v[58:59]
	v_fma_f64 v[36:37], v[96:97], s[6:7], v[58:59]
	;; [unrolled: 1-line block ×6, first 2 shown]
	v_add_f64 v[12:13], v[64:65], -v[68:69]
	v_fma_f64 v[62:63], v[70:71], s[6:7], v[34:35]
	v_fma_f64 v[64:65], v[70:71], s[4:5], v[34:35]
	;; [unrolled: 1-line block ×4, first 2 shown]
	v_fma_f64 v[60:61], v[60:61], -0.5, v[92:93]
	v_fma_f64 v[68:69], v[66:67], s[4:5], v[42:43]
	v_fma_f64 v[66:67], v[66:67], s[6:7], v[42:43]
	;; [unrolled: 1-line block ×5, first 2 shown]
	v_add_f64 v[24:25], v[142:143], v[106:107]
	v_add_f64 v[106:107], v[144:145], v[18:19]
	v_fma_f64 v[84:85], v[84:85], s[6:7], v[94:95]
	v_fma_f64 v[48:49], v[56:57], s[6:7], v[40:41]
	;; [unrolled: 1-line block ×7, first 2 shown]
	v_mul_f64 v[38:39], v[32:33], s[6:7]
	v_mul_f64 v[32:33], v[32:33], 0.5
	v_fma_f64 v[90:91], v[72:73], s[4:5], v[88:89]
	v_fma_f64 v[72:73], v[72:73], s[6:7], v[88:89]
	v_mul_f64 v[88:89], v[36:37], s[6:7]
	v_mul_f64 v[36:37], v[36:37], -0.5
	v_add_f64 v[110:111], v[146:147], v[110:111]
	v_fma_f64 v[80:81], v[150:151], -0.5, v[80:81]
	v_mul_f64 v[94:95], v[54:55], s[6:7]
	v_mul_f64 v[54:55], v[54:55], 0.5
	v_mul_f64 v[98:99], v[46:47], s[6:7]
	v_mul_f64 v[46:47], v[46:47], -0.5
	v_fma_f64 v[92:93], v[152:153], s[6:7], v[78:79]
	v_mul_f64 v[100:101], v[34:35], s[6:7]
	v_mul_f64 v[34:35], v[34:35], 0.5
	v_fma_f64 v[78:79], v[152:153], s[4:5], v[78:79]
	v_mul_f64 v[102:103], v[70:71], s[6:7]
	v_mul_f64 v[70:71], v[70:71], -0.5
	v_fma_f64 v[96:97], v[156:157], s[6:7], v[60:61]
	v_mul_f64 v[104:105], v[74:75], s[6:7]
	v_mul_f64 v[74:75], v[74:75], 0.5
	v_add_f64 v[28:29], v[10:11], v[28:29]
	v_add_f64 v[10:11], v[20:21], v[22:23]
	v_add_f64 v[14:15], v[20:21], -v[22:23]
	v_add_f64 v[18:19], v[106:107], v[133:134]
	v_add_f64 v[22:23], v[106:107], -v[133:134]
	v_fma_f64 v[60:61], v[156:157], s[4:5], v[60:61]
	v_mul_f64 v[106:107], v[84:85], s[6:7]
	v_mul_f64 v[84:85], v[84:85], -0.5
	v_fma_f64 v[38:39], v[58:59], 0.5, v[38:39]
	v_fma_f64 v[32:33], v[58:59], s[4:5], v[32:33]
	v_fma_f64 v[58:59], v[50:51], -0.5, v[88:89]
	v_fma_f64 v[50:51], v[50:51], s[4:5], v[36:37]
	v_add_f64 v[16:17], v[24:25], v[110:111]
	v_add_f64 v[20:21], v[24:25], -v[110:111]
	v_fma_f64 v[110:111], v[131:132], s[6:7], v[80:81]
	v_fma_f64 v[123:124], v[131:132], s[4:5], v[80:81]
	v_fma_f64 v[80:81], v[42:43], 0.5, v[94:95]
	v_fma_f64 v[54:55], v[42:43], s[4:5], v[54:55]
	v_fma_f64 v[88:89], v[154:155], s[4:5], v[82:83]
	;; [unrolled: 1-line block ×3, first 2 shown]
	v_fma_f64 v[82:83], v[44:45], -0.5, v[98:99]
	v_fma_f64 v[94:95], v[44:45], s[4:5], v[46:47]
	v_fma_f64 v[98:99], v[92:93], 0.5, v[100:101]
	v_fma_f64 v[92:93], v[92:93], s[4:5], v[34:35]
	v_fma_f64 v[100:101], v[78:79], -0.5, v[102:103]
	v_fma_f64 v[70:71], v[78:79], s[4:5], v[70:71]
	v_fma_f64 v[78:79], v[96:97], 0.5, v[104:105]
	v_fma_f64 v[96:97], v[96:97], s[4:5], v[74:75]
	v_fma_f64 v[102:103], v[60:61], -0.5, v[106:107]
	v_fma_f64 v[104:105], v[60:61], s[4:5], v[84:85]
	s_barrier
	buffer_gl0_inv
	ds_write_b128 v138, v[0:3]
	ds_write_b128 v138, v[4:7] offset:288
	v_add_f64 v[0:1], v[48:49], v[38:39]
	v_add_f64 v[2:3], v[52:53], v[32:33]
	v_add_f64 v[6:7], v[52:53], -v[32:33]
	v_add_f64 v[32:33], v[40:41], v[58:59]
	v_add_f64 v[34:35], v[56:57], v[50:51]
	v_add_f64 v[4:5], v[48:49], -v[38:39]
	v_add_f64 v[36:37], v[40:41], -v[58:59]
	;; [unrolled: 1-line block ×3, first 2 shown]
	v_add_f64 v[40:41], v[62:63], v[80:81]
	v_add_f64 v[42:43], v[68:69], v[54:55]
	;; [unrolled: 1-line block ×4, first 2 shown]
	v_add_f64 v[44:45], v[62:63], -v[80:81]
	v_add_f64 v[46:47], v[68:69], -v[54:55]
	;; [unrolled: 1-line block ×4, first 2 shown]
	v_add_f64 v[56:57], v[76:77], v[98:99]
	v_add_f64 v[58:59], v[90:91], v[92:93]
	;; [unrolled: 1-line block ×4, first 2 shown]
	v_add_f64 v[60:61], v[76:77], -v[98:99]
	v_add_f64 v[62:63], v[90:91], -v[92:93]
	;; [unrolled: 1-line block ×4, first 2 shown]
	v_add_f64 v[24:25], v[135:136], v[28:29]
	v_add_f64 v[72:73], v[110:111], v[78:79]
	;; [unrolled: 1-line block ×5, first 2 shown]
	v_add_f64 v[28:29], v[135:136], -v[28:29]
	v_add_f64 v[76:77], v[110:111], -v[78:79]
	v_add_f64 v[78:79], v[88:89], -v[96:97]
	v_add_f64 v[84:85], v[123:124], -v[102:103]
	v_add_f64 v[86:87], v[125:126], -v[104:105]
	ds_write_b128 v138, v[0:3] offset:96
	ds_write_b128 v138, v[32:35] offset:192
	ds_write_b128 v138, v[4:7] offset:384
	ds_write_b128 v138, v[36:39] offset:480
	ds_write_b128 v158, v[8:11]
	ds_write_b128 v158, v[40:43] offset:96
	ds_write_b128 v158, v[48:51] offset:192
	ds_write_b128 v158, v[12:15] offset:288
	ds_write_b128 v158, v[44:47] offset:384
	ds_write_b128 v158, v[52:55] offset:480
	ds_write_b128 v159, v[16:19]
	ds_write_b128 v159, v[56:59] offset:96
	;; [unrolled: 6-line block ×3, first 2 shown]
	ds_write_b128 v160, v[80:83] offset:192
	ds_write_b128 v160, v[28:31] offset:288
	;; [unrolled: 1-line block ×4, first 2 shown]
	v_mov_b32_e32 v12, 0xe38f
	s_waitcnt lgkmcnt(0)
	s_barrier
	buffer_gl0_inv
	s_clause 0x1
	global_load_dwordx4 v[48:51], v161, s[12:13] offset:480
	global_load_dwordx4 v[76:79], v161, s[12:13] offset:496
	v_mul_u32_u24_sdwa v0, v118, v12 dst_sel:DWORD dst_unused:UNUSED_PAD src0_sel:WORD_0 src1_sel:DWORD
	s_clause 0x2
	global_load_dwordx4 v[72:75], v161, s[12:13] offset:512
	global_load_dwordx4 v[68:71], v161, s[12:13] offset:528
	;; [unrolled: 1-line block ×3, first 2 shown]
	v_mul_u32_u24_sdwa v1, v108, v12 dst_sel:DWORD dst_unused:UNUSED_PAD src0_sel:WORD_0 src1_sel:DWORD
	v_lshrrev_b32_e32 v143, 21, v0
	v_mul_u32_u24_sdwa v12, v120, v12 dst_sel:DWORD dst_unused:UNUSED_PAD src0_sel:WORD_0 src1_sel:DWORD
	v_lshrrev_b32_e32 v145, 21, v1
	v_mul_lo_u16 v0, v143, 36
	v_lshrrev_b32_e32 v147, 21, v12
	v_mul_lo_u16 v1, v145, 36
	v_sub_nc_u16 v142, v118, v0
	v_mul_lo_u16 v17, v147, 36
	v_sub_nc_u16 v144, v108, v1
	v_mul_u32_u24_sdwa v0, v142, v109 dst_sel:DWORD dst_unused:UNUSED_PAD src0_sel:WORD_0 src1_sel:DWORD
	v_sub_nc_u16 v146, v120, v17
	v_mul_u32_u24_sdwa v1, v144, v109 dst_sel:DWORD dst_unused:UNUSED_PAD src0_sel:WORD_0 src1_sel:DWORD
	v_lshlrev_b32_e32 v0, 4, v0
	s_clause 0x4
	global_load_dwordx4 v[84:87], v0, s[12:13] offset:480
	global_load_dwordx4 v[88:91], v0, s[12:13] offset:496
	;; [unrolled: 1-line block ×5, first 2 shown]
	v_lshlrev_b32_e32 v16, 4, v1
	s_clause 0x4
	global_load_dwordx4 v[4:7], v16, s[12:13] offset:480
	global_load_dwordx4 v[8:11], v16, s[12:13] offset:496
	;; [unrolled: 1-line block ×5, first 2 shown]
	v_mul_u32_u24_sdwa v20, v146, v109 dst_sel:DWORD dst_unused:UNUSED_PAD src0_sel:WORD_0 src1_sel:DWORD
	v_lshlrev_b32_e32 v36, 4, v20
	s_clause 0x4
	global_load_dwordx4 v[20:23], v36, s[12:13] offset:480
	global_load_dwordx4 v[24:27], v36, s[12:13] offset:496
	;; [unrolled: 1-line block ×5, first 2 shown]
	ds_read_b128 v[108:111], v139 offset:9216
	ds_read_b128 v[80:83], v139 offset:18432
	;; [unrolled: 1-line block ×10, first 2 shown]
	s_waitcnt vmcnt(19) lgkmcnt(9)
	v_mul_f64 v[123:124], v[110:111], v[50:51]
	v_mul_f64 v[50:51], v[108:109], v[50:51]
	s_waitcnt vmcnt(18) lgkmcnt(8)
	v_mul_f64 v[125:126], v[82:83], v[78:79]
	s_waitcnt vmcnt(17) lgkmcnt(7)
	v_mul_f64 v[129:130], v[106:107], v[74:75]
	v_mul_f64 v[74:75], v[104:105], v[74:75]
	s_waitcnt vmcnt(16) lgkmcnt(6)
	v_mul_f64 v[131:132], v[102:103], v[70:71]
	v_mul_f64 v[70:71], v[100:101], v[70:71]
	;; [unrolled: 1-line block ×3, first 2 shown]
	s_waitcnt vmcnt(15) lgkmcnt(3)
	v_mul_f64 v[137:138], v[135:136], v[66:67]
	v_mul_f64 v[66:67], v[133:134], v[66:67]
	v_fma_f64 v[108:109], v[108:109], v[48:49], v[123:124]
	v_fma_f64 v[110:111], v[110:111], v[48:49], -v[50:51]
	ds_read_b128 v[152:155], v139 offset:20736
	ds_read_b128 v[48:51], v139 offset:43776
	v_fma_f64 v[127:128], v[80:81], v[76:77], v[125:126]
	v_fma_f64 v[125:126], v[104:105], v[72:73], v[129:130]
	v_fma_f64 v[104:105], v[106:107], v[72:73], -v[74:75]
	ds_read_b128 v[156:159], v139 offset:29952
	v_fma_f64 v[131:132], v[100:101], v[68:69], v[131:132]
	s_waitcnt vmcnt(14) lgkmcnt(4)
	v_mul_f64 v[164:165], v[150:151], v[86:87]
	v_mul_f64 v[86:87], v[148:149], v[86:87]
	v_fma_f64 v[106:107], v[102:103], v[68:69], -v[70:71]
	v_fma_f64 v[123:124], v[82:83], v[76:77], -v[78:79]
	ds_read_b128 v[80:83], v139 offset:13824
	ds_read_b128 v[76:79], v139 offset:23040
	;; [unrolled: 1-line block ×4, first 2 shown]
	v_fma_f64 v[129:130], v[133:134], v[64:65], v[137:138]
	v_fma_f64 v[102:103], v[135:136], v[64:65], -v[66:67]
	s_waitcnt vmcnt(13) lgkmcnt(6)
	v_mul_f64 v[68:69], v[154:155], v[90:91]
	v_mul_f64 v[70:71], v[152:153], v[90:91]
	s_waitcnt vmcnt(12) lgkmcnt(4)
	v_mul_f64 v[64:65], v[158:159], v[94:95]
	v_mul_f64 v[66:67], v[156:157], v[94:95]
	v_fma_f64 v[90:91], v[148:149], v[84:85], v[164:165]
	v_fma_f64 v[100:101], v[150:151], v[84:85], -v[86:87]
	ds_read_b128 v[84:87], v139 offset:48384
	s_waitcnt vmcnt(11) lgkmcnt(2)
	v_mul_f64 v[148:149], v[162:163], v[98:99]
	v_mul_f64 v[150:151], v[160:161], v[98:99]
	v_fma_f64 v[133:134], v[152:153], v[88:89], v[68:69]
	v_fma_f64 v[94:95], v[154:155], v[88:89], -v[70:71]
	ds_read_b128 v[68:71], v139 offset:41472
	v_fma_f64 v[98:99], v[156:157], v[92:93], v[64:65]
	v_fma_f64 v[88:89], v[158:159], v[92:93], -v[66:67]
	ds_read_b128 v[64:67], v139 offset:50688
	s_waitcnt vmcnt(10) lgkmcnt(2)
	v_mul_f64 v[135:136], v[86:87], v[42:43]
	v_mul_f64 v[137:138], v[84:85], v[42:43]
	v_fma_f64 v[92:93], v[160:161], v[96:97], v[148:149]
	v_fma_f64 v[42:43], v[162:163], v[96:97], -v[150:151]
	s_waitcnt vmcnt(9)
	v_mul_f64 v[96:97], v[82:83], v[6:7]
	v_mul_f64 v[6:7], v[80:81], v[6:7]
	v_mov_b32_e32 v151, 0x12f7
	v_mul_u32_u24_e32 v149, 3, v114
	v_add_nc_u32_e32 v150, 0xffffffb8, v114
	v_mov_b32_e32 v148, 0xd80
	v_mov_b32_e32 v161, 3
	v_mul_u32_u24_sdwa v141, v141, v148 dst_sel:DWORD dst_unused:UNUSED_PAD src0_sel:WORD_0 src1_sel:DWORD
	v_fma_f64 v[135:136], v[84:85], v[40:41], v[135:136]
	v_fma_f64 v[40:41], v[86:87], v[40:41], -v[137:138]
	s_waitcnt vmcnt(8)
	v_mul_f64 v[85:86], v[78:79], v[10:11]
	v_mul_f64 v[10:11], v[76:77], v[10:11]
	v_lshlrev_b32_e32 v87, 4, v149
	v_fma_f64 v[96:97], v[80:81], v[4:5], v[96:97]
	v_fma_f64 v[82:83], v[82:83], v[4:5], -v[6:7]
	s_waitcnt vmcnt(7)
	v_mul_f64 v[4:5], v[74:75], v[2:3]
	v_mul_f64 v[2:3], v[72:73], v[2:3]
	v_lshrrev_b16 v6, 3, v121
	v_lshrrev_b16 v7, 3, v122
	;; [unrolled: 1-line block ×3, first 2 shown]
	v_cndmask_b32_e64 v84, v150, v118, s0
	v_add_co_u32 v81, s0, s12, v87
	v_mul_u32_u24_sdwa v152, v6, v151 dst_sel:DWORD dst_unused:UNUSED_PAD src0_sel:WORD_0 src1_sel:DWORD
	v_mul_u32_u24_sdwa v153, v7, v151 dst_sel:DWORD dst_unused:UNUSED_PAD src0_sel:WORD_0 src1_sel:DWORD
	s_waitcnt vmcnt(6) lgkmcnt(1)
	v_mul_f64 v[6:7], v[70:71], v[14:15]
	v_mul_u32_u24_sdwa v87, v149, v151 dst_sel:DWORD dst_unused:UNUSED_PAD src0_sel:WORD_0 src1_sel:DWORD
	v_add_co_ci_u32_e64 v80, null, s13, 0, s0
	v_lshrrev_b32_e32 v155, 17, v153
	v_mov_b32_e32 v138, v119
	v_mul_i32_i24_e32 v137, 3, v84
	v_fma_f64 v[85:86], v[76:77], v[8:9], v[85:86]
	v_fma_f64 v[77:78], v[78:79], v[8:9], -v[10:11]
	v_mul_f64 v[8:9], v[68:69], v[14:15]
	s_waitcnt vmcnt(5) lgkmcnt(0)
	v_mul_f64 v[10:11], v[66:67], v[18:19]
	v_mul_f64 v[14:15], v[64:65], v[18:19]
	v_fma_f64 v[18:19], v[72:73], v[0:1], v[4:5]
	v_fma_f64 v[72:73], v[74:75], v[0:1], -v[2:3]
	s_waitcnt vmcnt(4)
	v_mul_f64 v[74:75], v[62:63], v[22:23]
	v_mul_f64 v[22:23], v[60:61], v[22:23]
	ds_read_b128 v[0:3], v139 offset:52992
	v_lshrrev_b32_e32 v4, 17, v87
	v_mul_u32_u24_e32 v79, 0xd80, v143
	v_mul_u32_u24_e32 v143, 0xd80, v145
	;; [unrolled: 1-line block ×3, first 2 shown]
	v_mul_lo_u16 v166, 0xd8, v155
	v_fma_f64 v[68:69], v[68:69], v[12:13], v[6:7]
	v_mul_lo_u16 v162, 0xd8, v4
	ds_read_b128 v[4:7], v139
	v_add_co_u32 v147, s0, 0x800, v81
	v_add_co_ci_u32_e64 v148, s0, 0, v80, s0
	v_add_co_u32 v149, s0, 0xd20, v81
	v_fma_f64 v[70:71], v[70:71], v[12:13], -v[8:9]
	s_waitcnt vmcnt(3)
	v_mul_f64 v[8:9], v[58:59], v[26:27]
	v_mul_f64 v[12:13], v[56:57], v[26:27]
	s_waitcnt vmcnt(2)
	v_mul_f64 v[26:27], v[54:55], v[30:31]
	v_fma_f64 v[64:65], v[64:65], v[16:17], v[10:11]
	v_fma_f64 v[16:17], v[66:67], v[16:17], -v[14:15]
	v_mul_f64 v[14:15], v[52:53], v[30:31]
	v_lshlrev_b32_sdwa v10, v115, v140 dst_sel:DWORD dst_unused:UNUSED_PAD src0_sel:DWORD src1_sel:BYTE_0
	v_lshlrev_b32_sdwa v11, v115, v142 dst_sel:DWORD dst_unused:UNUSED_PAD src0_sel:DWORD src1_sel:WORD_0
	v_fma_f64 v[30:31], v[60:61], v[20:21], v[74:75]
	v_fma_f64 v[20:21], v[62:63], v[20:21], -v[22:23]
	s_waitcnt vmcnt(1)
	v_mul_f64 v[22:23], v[50:51], v[34:35]
	s_waitcnt vmcnt(0) lgkmcnt(1)
	v_mul_f64 v[60:61], v[2:3], v[38:39]
	v_mul_f64 v[38:39], v[0:1], v[38:39]
	v_lshlrev_b32_sdwa v67, v115, v146 dst_sel:DWORD dst_unused:UNUSED_PAD src0_sel:DWORD src1_sel:WORD_0
	v_add3_u32 v146, 0, v141, v10
	v_add3_u32 v79, 0, v79, v11
	v_mul_f64 v[34:35], v[48:49], v[34:35]
	v_lshlrev_b32_sdwa v66, v115, v144 dst_sel:DWORD dst_unused:UNUSED_PAD src0_sel:DWORD src1_sel:WORD_0
	v_add_f64 v[62:63], v[94:95], v[42:43]
	v_add_f64 v[140:141], v[90:91], v[98:99]
	v_add3_u32 v165, 0, v145, v67
	v_add_f64 v[74:75], v[77:78], v[70:71]
	v_fma_f64 v[56:57], v[56:57], v[24:25], v[8:9]
	ds_read_b128 v[8:11], v139 offset:2304
	v_fma_f64 v[24:25], v[58:59], v[24:25], -v[12:13]
	v_add_f64 v[58:59], v[123:124], v[106:107]
	v_fma_f64 v[26:27], v[52:53], v[28:29], v[26:27]
	v_fma_f64 v[28:29], v[54:55], v[28:29], -v[14:15]
	ds_read_b128 v[12:15], v139 offset:4608
	v_add_f64 v[52:53], v[127:128], v[131:132]
	v_add_f64 v[54:55], v[133:134], v[92:93]
	v_add3_u32 v164, 0, v143, v66
	v_fma_f64 v[22:23], v[48:49], v[32:33], v[22:23]
	v_fma_f64 v[0:1], v[0:1], v[36:37], v[60:61]
	v_fma_f64 v[2:3], v[2:3], v[36:37], -v[38:39]
	s_waitcnt lgkmcnt(2)
	v_add_f64 v[36:37], v[6:7], v[123:124]
	v_add_f64 v[38:39], v[108:109], v[125:126]
	v_add_f64 v[48:49], v[110:111], v[104:105]
	v_add_f64 v[142:143], v[100:101], v[88:89]
	v_fma_f64 v[32:33], v[50:51], v[32:33], -v[34:35]
	v_add_f64 v[34:35], v[4:5], v[127:128]
	v_add_f64 v[123:124], v[123:124], -v[106:107]
	v_add_f64 v[66:67], v[85:86], v[68:69]
	s_waitcnt lgkmcnt(1)
	v_add_f64 v[60:61], v[10:11], v[94:95]
	v_add_f64 v[50:51], v[8:9], v[133:134]
	v_fma_f64 v[62:63], v[62:63], -0.5, v[10:11]
	v_add_f64 v[10:11], v[82:83], v[72:73]
	v_fma_f64 v[58:59], v[58:59], -0.5, v[6:7]
	s_waitcnt lgkmcnt(0)
	v_add_f64 v[6:7], v[14:15], v[77:78]
	v_add_f64 v[94:95], v[94:95], -v[42:43]
	v_add_f64 v[77:78], v[77:78], -v[70:71]
	v_fma_f64 v[52:53], v[52:53], -0.5, v[4:5]
	v_add_f64 v[4:5], v[12:13], v[85:86]
	v_fma_f64 v[54:55], v[54:55], -0.5, v[8:9]
	v_add_f64 v[8:9], v[96:97], v[18:19]
	v_add_f64 v[127:128], v[127:128], -v[131:132]
	v_add_f64 v[133:134], v[133:134], -v[92:93]
	v_add_f64 v[36:37], v[36:37], v[106:107]
	v_add_f64 v[106:107], v[125:126], v[129:130]
	v_add_f64 v[125:126], v[125:126], -v[129:130]
	v_add_f64 v[38:39], v[38:39], v[129:130]
	v_add_f64 v[129:130], v[104:105], v[102:103]
	;; [unrolled: 3-line block ×3, first 2 shown]
	v_add_f64 v[42:43], v[60:61], v[42:43]
	v_add_f64 v[60:61], v[98:99], v[135:136]
	v_add_f64 v[98:99], v[98:99], -v[135:136]
	v_add_f64 v[135:136], v[140:141], v[135:136]
	v_add_f64 v[140:141], v[88:89], v[40:41]
	v_add_f64 v[87:88], v[88:89], -v[40:41]
	v_add_f64 v[40:41], v[142:143], v[40:41]
	v_add_f64 v[142:143], v[20:21], v[28:29]
	;; [unrolled: 1-line block ×8, first 2 shown]
	v_add_f64 v[85:86], v[85:86], -v[68:69]
	v_add_f64 v[68:69], v[4:5], v[68:69]
	v_add_f64 v[4:5], v[18:19], v[64:65]
	v_add_f64 v[144:145], v[18:19], -v[64:65]
	v_add_f64 v[64:65], v[8:9], v[64:65]
	v_add_f64 v[8:9], v[28:29], v[2:3]
	v_fma_f64 v[74:75], v[74:75], -0.5, v[14:15]
	v_add_f64 v[14:15], v[24:25], v[32:33]
	v_add_f64 v[153:154], v[10:11], v[16:17]
	;; [unrolled: 1-line block ×3, first 2 shown]
	v_add_f64 v[157:158], v[24:25], -v[32:33]
	v_add_f64 v[32:33], v[102:103], v[32:33]
	v_fma_f64 v[110:111], v[129:130], -0.5, v[110:111]
	v_fma_f64 v[100:101], v[140:141], -0.5, v[100:101]
	v_add_f64 v[155:156], v[26:27], -v[0:1]
	v_add_f64 v[102:103], v[142:143], v[2:3]
	v_add_f64 v[159:160], v[28:29], -v[2:3]
	v_fma_f64 v[82:83], v[6:7], -0.5, v[82:83]
	v_fma_f64 v[60:61], v[60:61], -0.5, v[90:91]
	v_add_f64 v[28:29], v[131:132], v[22:23]
	v_fma_f64 v[66:67], v[66:67], -0.5, v[12:13]
	v_add_f64 v[92:93], v[92:93], v[0:1]
	;; [unrolled: 2-line block ×4, first 2 shown]
	v_add_f64 v[4:5], v[34:35], -v[38:39]
	v_fma_f64 v[96:97], v[8:9], -0.5, v[20:21]
	v_add_f64 v[72:73], v[72:73], -v[16:17]
	v_add_f64 v[2:3], v[36:37], v[48:49]
	v_add_f64 v[6:7], v[36:37], -v[48:49]
	v_fma_f64 v[108:109], v[10:11], -0.5, v[30:31]
	v_fma_f64 v[36:37], v[123:124], s[6:7], v[52:53]
	v_fma_f64 v[38:39], v[123:124], s[4:5], v[52:53]
	;; [unrolled: 1-line block ×4, first 2 shown]
	v_fma_f64 v[46:47], v[14:15], -0.5, v[46:47]
	v_add_f64 v[26:27], v[32:33], v[102:103]
	v_add_f64 v[30:31], v[32:33], -v[102:103]
	v_fma_f64 v[32:33], v[125:126], s[4:5], v[110:111]
	v_add_f64 v[10:11], v[42:43], v[40:41]
	v_add_f64 v[14:15], v[42:43], -v[40:41]
	v_fma_f64 v[40:41], v[127:128], s[4:5], v[58:59]
	v_fma_f64 v[42:43], v[127:128], s[6:7], v[58:59]
	;; [unrolled: 1-line block ×3, first 2 shown]
	v_add_f64 v[56:57], v[56:57], -v[22:23]
	v_add_f64 v[18:19], v[70:71], v[153:154]
	v_add_f64 v[22:23], v[70:71], -v[153:154]
	v_fma_f64 v[70:71], v[144:145], s[4:5], v[82:83]
	v_fma_f64 v[82:83], v[144:145], s[6:7], v[82:83]
	v_add_f64 v[24:25], v[28:29], v[92:93]
	v_add_f64 v[28:29], v[28:29], -v[92:93]
	v_fma_f64 v[91:92], v[87:88], s[6:7], v[60:61]
	v_fma_f64 v[60:61], v[87:88], s[4:5], v[60:61]
	;; [unrolled: 1-line block ×3, first 2 shown]
	v_add_f64 v[16:17], v[68:69], v[64:65]
	v_add_f64 v[20:21], v[68:69], -v[64:65]
	v_fma_f64 v[64:65], v[94:95], s[6:7], v[54:55]
	v_fma_f64 v[54:55], v[94:95], s[4:5], v[54:55]
	v_fma_f64 v[95:96], v[155:156], s[6:7], v[96:97]
	v_fma_f64 v[48:49], v[104:105], s[6:7], v[106:107]
	v_fma_f64 v[93:94], v[77:78], s[6:7], v[66:67]
	v_fma_f64 v[77:78], v[77:78], s[4:5], v[66:67]
	v_mul_f64 v[66:67], v[32:33], s[6:7]
	v_mul_f64 v[32:33], v[32:33], 0.5
	v_fma_f64 v[44:45], v[12:13], -0.5, v[44:45]
	v_add_f64 v[8:9], v[50:51], v[135:136]
	v_add_f64 v[12:13], v[50:51], -v[135:136]
	v_fma_f64 v[50:51], v[104:105], s[4:5], v[106:107]
	v_fma_f64 v[97:98], v[85:86], s[4:5], v[74:75]
	;; [unrolled: 1-line block ×3, first 2 shown]
	v_mul_f64 v[85:86], v[34:35], s[6:7]
	v_mul_f64 v[34:35], v[34:35], -0.5
	v_fma_f64 v[99:100], v[72:73], s[6:7], v[89:90]
	v_fma_f64 v[72:73], v[72:73], s[4:5], v[89:90]
	v_mul_f64 v[89:90], v[52:53], s[6:7]
	v_mul_f64 v[52:53], v[52:53], 0.5
	v_mul_f64 v[105:106], v[58:59], s[6:7]
	v_mul_f64 v[58:59], v[58:59], -0.5
	v_fma_f64 v[101:102], v[159:160], s[6:7], v[108:109]
	v_fma_f64 v[103:104], v[159:160], s[4:5], v[108:109]
	v_mul_f64 v[107:108], v[70:71], s[6:7]
	v_mul_f64 v[70:71], v[70:71], 0.5
	v_mul_f64 v[109:110], v[82:83], s[6:7]
	v_mul_f64 v[82:83], v[82:83], -0.5
	v_mul_f64 v[123:124], v[87:88], s[6:7]
	v_mul_f64 v[87:88], v[87:88], 0.5
	v_mul_f64 v[125:126], v[95:96], s[6:7]
	v_mul_f64 v[95:96], v[95:96], -0.5
	v_fma_f64 v[66:67], v[48:49], 0.5, v[66:67]
	v_fma_f64 v[32:33], v[48:49], s[4:5], v[32:33]
	v_fma_f64 v[127:128], v[157:158], s[6:7], v[44:45]
	;; [unrolled: 1-line block ×3, first 2 shown]
	v_fma_f64 v[44:45], v[50:51], -0.5, v[85:86]
	v_fma_f64 v[48:49], v[50:51], s[4:5], v[34:35]
	v_fma_f64 v[68:69], v[133:134], s[4:5], v[62:63]
	;; [unrolled: 1-line block ×5, first 2 shown]
	v_fma_f64 v[46:47], v[91:92], 0.5, v[89:90]
	v_fma_f64 v[50:51], v[91:92], s[4:5], v[52:53]
	v_fma_f64 v[52:53], v[60:61], -0.5, v[105:106]
	v_fma_f64 v[56:57], v[60:61], s[4:5], v[58:59]
	v_fma_f64 v[60:61], v[99:100], 0.5, v[107:108]
	v_fma_f64 v[70:71], v[99:100], s[4:5], v[70:71]
	v_fma_f64 v[85:86], v[72:73], -0.5, v[109:110]
	v_fma_f64 v[72:73], v[72:73], s[4:5], v[82:83]
	;; [unrolled: 4-line block ×3, first 2 shown]
	s_barrier
	buffer_gl0_inv
	ds_write_b128 v146, v[0:3]
	ds_write_b128 v146, v[4:7] offset:1728
	v_add_f64 v[0:1], v[36:37], v[66:67]
	v_add_f64 v[2:3], v[40:41], v[32:33]
	v_add_f64 v[6:7], v[40:41], -v[32:33]
	v_add_f64 v[32:33], v[38:39], v[44:45]
	v_add_f64 v[34:35], v[42:43], v[48:49]
	v_add_f64 v[4:5], v[36:37], -v[66:67]
	v_add_f64 v[36:37], v[38:39], -v[44:45]
	;; [unrolled: 1-line block ×3, first 2 shown]
	v_add_f64 v[40:41], v[64:65], v[46:47]
	v_add_f64 v[42:43], v[68:69], v[50:51]
	v_add_f64 v[44:45], v[64:65], -v[46:47]
	v_add_f64 v[46:47], v[68:69], -v[50:51]
	v_add_f64 v[48:49], v[54:55], v[52:53]
	v_add_f64 v[50:51], v[62:63], v[56:57]
	v_add_f64 v[52:53], v[54:55], -v[52:53]
	v_add_f64 v[54:55], v[62:63], -v[56:57]
	v_add_f64 v[56:57], v[93:94], v[60:61]
	v_add_f64 v[58:59], v[97:98], v[70:71]
	;; [unrolled: 1-line block ×4, first 2 shown]
	v_add_f64 v[60:61], v[93:94], -v[60:61]
	v_add_f64 v[62:63], v[97:98], -v[70:71]
	;; [unrolled: 1-line block ×4, first 2 shown]
	v_add_f64 v[72:73], v[127:128], v[82:83]
	v_add_f64 v[74:75], v[131:132], v[87:88]
	v_add_f64 v[89:90], v[129:130], v[99:100]
	v_add_f64 v[91:92], v[133:134], v[95:96]
	v_add_f64 v[85:86], v[127:128], -v[82:83]
	v_add_f64 v[87:88], v[131:132], -v[87:88]
	v_add_co_ci_u32_e64 v150, s0, 0, v80, s0
	v_lshlrev_b64 v[137:138], 4, v[137:138]
	v_add_f64 v[93:94], v[129:130], -v[99:100]
	v_add_f64 v[95:96], v[133:134], -v[95:96]
	ds_write_b128 v146, v[0:3] offset:576
	ds_write_b128 v146, v[32:35] offset:1152
	ds_write_b128 v146, v[4:7] offset:2304
	ds_write_b128 v146, v[36:39] offset:2880
	ds_write_b128 v79, v[8:11]
	ds_write_b128 v79, v[40:43] offset:576
	ds_write_b128 v79, v[48:51] offset:1152
	ds_write_b128 v79, v[12:15] offset:1728
	ds_write_b128 v79, v[44:47] offset:2304
	ds_write_b128 v79, v[52:55] offset:2880
	ds_write_b128 v164, v[16:19]
	ds_write_b128 v164, v[56:59] offset:576
	;; [unrolled: 6-line block ×3, first 2 shown]
	ds_write_b128 v165, v[89:92] offset:1152
	ds_write_b128 v165, v[28:31] offset:1728
	;; [unrolled: 1-line block ×4, first 2 shown]
	s_waitcnt lgkmcnt(0)
	s_barrier
	buffer_gl0_inv
	global_load_dwordx4 v[4:7], v[147:148], off offset:1312
	v_add_co_u32 v151, s0, 0x1800, v81
	v_lshrrev_b32_e32 v76, 17, v152
	v_add_co_ci_u32_e64 v152, s0, 0, v80, s0
	s_clause 0x1
	global_load_dwordx4 v[16:19], v[149:150], off offset:16
	global_load_dwordx4 v[8:11], v[149:150], off offset:32
	v_add_co_u32 v2, s0, s12, v137
	v_add_co_ci_u32_e64 v3, s0, s13, v138, s0
	v_mul_lo_u16 v163, 0xd8, v76
	v_add_co_u32 v0, s0, 0x800, v2
	v_sub_nc_u16 v12, v120, v162
	v_add_co_ci_u32_e64 v1, s0, 0, v3, s0
	v_add_co_u32 v20, s0, 0xd20, v2
	v_sub_nc_u16 v79, v121, v163
	v_sub_nc_u16 v13, v122, v166
	v_add_co_ci_u32_e64 v21, s0, 0, v3, s0
	v_and_b32_e32 v78, 0xffff, v12
	v_mul_u32_u24_sdwa v24, v79, v161 dst_sel:DWORD dst_unused:UNUSED_PAD src0_sel:WORD_0 src1_sel:DWORD
	global_load_dwordx4 v[0:3], v[0:1], off offset:1312
	v_and_b32_e32 v77, 0xffff, v13
	global_load_dwordx4 v[12:15], v[20:21], off offset:16
	v_mul_u32_u24_e32 v25, 3, v78
	global_load_dwordx4 v[68:71], v[20:21], off offset:32
	v_lshlrev_b32_e32 v24, 4, v24
	global_load_dwordx4 v[64:67], v[151:152], off offset:672
	v_add_co_u32 v22, s0, 0x1aa0, v81
	v_lshlrev_b32_e32 v25, 4, v25
	v_add_co_ci_u32_e64 v23, s0, 0, v80, s0
	v_mul_u32_u24_e32 v26, 3, v77
	v_add_co_u32 v24, s0, s12, v24
	global_load_dwordx4 v[60:63], v[22:23], off offset:16
	v_add_co_ci_u32_e64 v27, null, s13, 0, s0
	v_add_co_u32 v25, s0, s12, v25
	v_lshlrev_b32_e32 v36, 4, v26
	v_add_co_ci_u32_e64 v26, null, s13, 0, s0
	v_add_co_u32 v20, s0, 0x800, v25
	global_load_dwordx4 v[56:59], v[22:23], off offset:32
	v_add_co_ci_u32_e64 v21, s0, 0, v26, s0
	v_add_co_u32 v22, s0, 0xd20, v25
	v_add_co_ci_u32_e64 v23, s0, 0, v26, s0
	s_clause 0x1
	global_load_dwordx4 v[52:55], v[20:21], off offset:1312
	global_load_dwordx4 v[28:31], v[22:23], off offset:16
	v_add_co_u32 v32, s0, 0x800, v24
	v_add_co_ci_u32_e64 v33, s0, 0, v27, s0
	v_add_co_u32 v34, s0, 0xd20, v24
	v_add_co_ci_u32_e64 v35, s0, 0, v27, s0
	v_add_co_u32 v38, s0, s12, v36
	global_load_dwordx4 v[24:27], v[22:23], off offset:32
	v_add_co_ci_u32_e64 v39, null, s13, 0, s0
	v_add_co_u32 v36, s0, 0x800, v38
	global_load_dwordx4 v[20:23], v[32:33], off offset:1312
	v_add_co_ci_u32_e64 v37, s0, 0, v39, s0
	v_add_co_u32 v38, s0, 0xd20, v38
	s_clause 0x1
	global_load_dwordx4 v[40:43], v[34:35], off offset:16
	global_load_dwordx4 v[32:35], v[34:35], off offset:32
	v_add_co_ci_u32_e64 v39, s0, 0, v39, s0
	s_clause 0x2
	global_load_dwordx4 v[48:51], v[36:37], off offset:1312
	global_load_dwordx4 v[44:47], v[38:39], off offset:16
	;; [unrolled: 1-line block ×3, first 2 shown]
	v_cmp_lt_u32_e64 s0, 0x47, v114
	ds_read_b128 v[72:75], v139 offset:13824
	v_lshlrev_b32_e32 v88, 4, v84
	ds_read_b128 v[83:86], v139 offset:27648
	v_lshlrev_b32_sdwa v115, v115, v79 dst_sel:DWORD dst_unused:UNUSED_PAD src0_sel:DWORD src1_sel:WORD_0
	v_cndmask_b32_e64 v87, 0, 0x3600, s0
	v_add_co_u32 v142, s0, 0x3000, v81
	v_add_co_ci_u32_e64 v143, s0, 0, v80, s0
	v_add3_u32 v111, 0, v87, v88
	ds_read_b128 v[87:90], v139 offset:41472
	ds_read_b128 v[91:94], v139 offset:16128
	ds_read_b128 v[95:98], v139 offset:29952
	ds_read_b128 v[99:102], v139 offset:11520
	ds_read_b128 v[103:106], v139 offset:43776
	ds_read_b128 v[107:110], v139 offset:25344
	ds_read_b128 v[120:123], v139 offset:18432
	ds_read_b128 v[124:127], v139 offset:32256
	ds_read_b128 v[128:131], v139 offset:39168
	ds_read_b128 v[132:135], v139 offset:46080
	v_mul_u32_u24_e32 v76, 0x3600, v76
	v_mul_u32_u24_e32 v82, 3, v118
	v_add3_u32 v115, 0, v76, v115
	v_lshlrev_b32_e32 v82, 4, v82
	s_waitcnt vmcnt(17) lgkmcnt(11)
	v_mul_f64 v[140:141], v[72:73], v[6:7]
	v_mul_f64 v[136:137], v[74:75], v[6:7]
	v_add_co_u32 v6, s0, 0x35a0, v81
	v_add_co_ci_u32_e64 v7, s0, 0, v80, s0
	s_waitcnt vmcnt(16) lgkmcnt(10)
	v_mul_f64 v[80:81], v[85:86], v[18:19]
	v_mul_f64 v[18:19], v[83:84], v[18:19]
	s_waitcnt vmcnt(15) lgkmcnt(9)
	v_mul_f64 v[144:145], v[89:90], v[10:11]
	v_mul_f64 v[10:11], v[87:88], v[10:11]
	v_add_co_u32 v118, s0, s12, v82
	v_add_co_ci_u32_e64 v138, null, s13, 0, s0
	v_fma_f64 v[74:75], v[74:75], v[4:5], -v[140:141]
	v_fma_f64 v[136:137], v[72:73], v[4:5], v[136:137]
	s_waitcnt vmcnt(14) lgkmcnt(8)
	v_mul_f64 v[146:147], v[93:94], v[2:3]
	v_mul_f64 v[148:149], v[91:92], v[2:3]
	s_waitcnt vmcnt(13) lgkmcnt(7)
	v_mul_f64 v[150:151], v[97:98], v[14:15]
	v_mul_f64 v[152:153], v[95:96], v[14:15]
	;; [unrolled: 3-line block ×3, first 2 shown]
	v_fma_f64 v[79:80], v[83:84], v[16:17], v[80:81]
	v_fma_f64 v[156:157], v[85:86], v[16:17], -v[18:19]
	ds_read_b128 v[2:5], v139 offset:20736
	ds_read_b128 v[14:17], v139 offset:34560
	s_waitcnt vmcnt(11) lgkmcnt(5)
	v_mul_f64 v[18:19], v[122:123], v[66:67]
	v_fma_f64 v[87:88], v[87:88], v[8:9], v[144:145]
	v_mul_f64 v[144:145], v[120:121], v[66:67]
	v_fma_f64 v[89:90], v[89:90], v[8:9], -v[10:11]
	ds_read_b128 v[8:11], v139 offset:48384
	ds_read_b128 v[83:86], v139 offset:36864
	s_waitcnt vmcnt(10) lgkmcnt(6)
	v_mul_f64 v[158:159], v[126:127], v[62:63]
	ds_read_b128 v[70:73], v139 offset:23040
	v_fma_f64 v[91:92], v[91:92], v[0:1], v[146:147]
	v_fma_f64 v[93:94], v[93:94], v[0:1], -v[148:149]
	v_mul_f64 v[0:1], v[124:125], v[62:63]
	s_waitcnt vmcnt(9) lgkmcnt(5)
	v_mul_f64 v[146:147], v[134:135], v[58:59]
	v_fma_f64 v[95:96], v[95:96], v[12:13], v[150:151]
	v_fma_f64 v[97:98], v[97:98], v[12:13], -v[152:153]
	v_mul_f64 v[12:13], v[132:133], v[58:59]
	v_fma_f64 v[103:104], v[103:104], v[68:69], v[140:141]
	v_fma_f64 v[105:106], v[105:106], v[68:69], -v[154:155]
	ds_read_b128 v[66:69], v139 offset:50688
	v_fma_f64 v[120:121], v[120:121], v[64:65], v[18:19]
	s_waitcnt vmcnt(8) lgkmcnt(5)
	v_mul_f64 v[140:141], v[4:5], v[54:55]
	v_mul_f64 v[54:55], v[2:3], v[54:55]
	s_waitcnt vmcnt(7) lgkmcnt(4)
	v_mul_f64 v[148:149], v[16:17], v[30:31]
	v_mul_f64 v[30:31], v[14:15], v[30:31]
	v_fma_f64 v[122:123], v[122:123], v[64:65], -v[144:145]
	ds_read_b128 v[62:65], v139 offset:52992
	v_fma_f64 v[124:125], v[124:125], v[60:61], v[158:159]
	v_lshl_add_u32 v151, v77, 4, 0
	v_lshl_add_u32 v150, v78, 4, 0
	s_waitcnt vmcnt(6) lgkmcnt(4)
	v_mul_f64 v[18:19], v[10:11], v[26:27]
	v_mul_f64 v[26:27], v[8:9], v[26:27]
	v_fma_f64 v[126:127], v[126:127], v[60:61], -v[0:1]
	ds_read_b128 v[58:61], v139
	v_fma_f64 v[132:133], v[132:133], v[56:57], v[146:147]
	s_waitcnt vmcnt(5) lgkmcnt(3)
	v_mul_f64 v[144:145], v[72:73], v[22:23]
	v_mul_f64 v[22:23], v[70:71], v[22:23]
	v_fma_f64 v[56:57], v[134:135], v[56:57], -v[12:13]
	s_waitcnt vmcnt(4)
	v_mul_f64 v[134:135], v[85:86], v[42:43]
	v_mul_f64 v[42:43], v[83:84], v[42:43]
	s_waitcnt vmcnt(3) lgkmcnt(2)
	v_mul_f64 v[146:147], v[68:69], v[34:35]
	v_mul_f64 v[34:35], v[66:67], v[34:35]
	v_fma_f64 v[140:141], v[2:3], v[52:53], v[140:141]
	v_fma_f64 v[4:5], v[4:5], v[52:53], -v[54:55]
	s_waitcnt vmcnt(2)
	v_mul_f64 v[52:53], v[109:110], v[50:51]
	v_mul_f64 v[50:51], v[107:108], v[50:51]
	s_waitcnt vmcnt(1)
	v_mul_f64 v[54:55], v[130:131], v[46:47]
	v_mul_f64 v[46:47], v[128:129], v[46:47]
	v_fma_f64 v[148:149], v[14:15], v[28:29], v[148:149]
	v_fma_f64 v[28:29], v[16:17], v[28:29], -v[30:31]
	s_waitcnt vmcnt(0) lgkmcnt(1)
	v_mul_f64 v[30:31], v[64:65], v[38:39]
	v_mul_f64 v[38:39], v[62:63], v[38:39]
	v_fma_f64 v[76:77], v[8:9], v[24:25], v[18:19]
	v_fma_f64 v[24:25], v[10:11], v[24:25], -v[26:27]
	ds_read_b128 v[0:3], v139 offset:2304
	ds_read_b128 v[8:11], v139 offset:4608
	;; [unrolled: 1-line block ×4, first 2 shown]
	v_fma_f64 v[26:27], v[70:71], v[20:21], v[144:145]
	v_fma_f64 v[70:71], v[72:73], v[20:21], -v[22:23]
	v_add_f64 v[56:57], v[122:123], -v[56:57]
	s_waitcnt lgkmcnt(0)
	v_fma_f64 v[20:21], v[83:84], v[40:41], v[134:135]
	v_fma_f64 v[22:23], v[85:86], v[40:41], -v[42:43]
	v_fma_f64 v[40:41], v[66:67], v[32:33], v[146:147]
	v_fma_f64 v[32:33], v[68:69], v[32:33], -v[34:35]
	v_add_f64 v[66:67], v[120:121], -v[132:133]
	s_barrier
	v_fma_f64 v[34:35], v[107:108], v[48:49], v[52:53]
	v_fma_f64 v[42:43], v[109:110], v[48:49], -v[50:51]
	v_fma_f64 v[48:49], v[128:129], v[44:45], v[54:55]
	v_fma_f64 v[44:45], v[130:131], v[44:45], -v[46:47]
	v_add_f64 v[50:51], v[58:59], -v[79:80]
	v_add_f64 v[46:47], v[136:137], -v[87:88]
	v_fma_f64 v[30:31], v[62:63], v[36:37], v[30:31]
	v_fma_f64 v[36:37], v[64:65], v[36:37], -v[38:39]
	v_add_f64 v[62:63], v[60:61], -v[156:157]
	v_add_f64 v[38:39], v[74:75], -v[89:90]
	v_add_f64 v[64:65], v[0:1], -v[95:96]
	v_add_f64 v[68:69], v[2:3], -v[97:98]
	v_add_f64 v[52:53], v[91:92], -v[103:104]
	v_add_f64 v[54:55], v[93:94], -v[105:106]
	v_add_f64 v[72:73], v[8:9], -v[124:125]
	v_add_f64 v[78:79], v[10:11], -v[126:127]
	v_add_f64 v[80:81], v[12:13], -v[148:149]
	v_add_f64 v[87:88], v[14:15], -v[28:29]
	v_add_f64 v[76:77], v[140:141], -v[76:77]
	v_add_f64 v[24:25], v[4:5], -v[24:25]
	v_add_f64 v[89:90], v[16:17], -v[20:21]
	v_add_f64 v[95:96], v[18:19], -v[22:23]
	v_add_f64 v[40:41], v[26:27], -v[40:41]
	v_add_f64 v[32:33], v[70:71], -v[32:33]
	v_add_f64 v[97:98], v[99:100], -v[48:49]
	v_add_f64 v[103:104], v[101:102], -v[44:45]
	v_fma_f64 v[58:59], v[58:59], 2.0, -v[50:51]
	v_fma_f64 v[28:29], v[136:137], 2.0, -v[46:47]
	v_add_f64 v[48:49], v[34:35], -v[30:31]
	v_add_f64 v[44:45], v[42:43], -v[36:37]
	v_fma_f64 v[83:84], v[60:61], 2.0, -v[62:63]
	v_fma_f64 v[30:31], v[74:75], 2.0, -v[38:39]
	v_add_f64 v[20:21], v[50:51], v[38:39]
	v_fma_f64 v[74:75], v[0:1], 2.0, -v[64:65]
	v_fma_f64 v[85:86], v[2:3], 2.0, -v[68:69]
	;; [unrolled: 1-line block ×4, first 2 shown]
	v_add_f64 v[22:23], v[62:63], -v[46:47]
	v_add_f64 v[0:1], v[64:65], v[54:55]
	v_fma_f64 v[91:92], v[8:9], 2.0, -v[72:73]
	v_fma_f64 v[93:94], v[10:11], 2.0, -v[78:79]
	;; [unrolled: 1-line block ×16, first 2 shown]
	v_add_f64 v[12:13], v[58:59], -v[28:29]
	v_add_f64 v[14:15], v[83:84], -v[30:31]
	;; [unrolled: 1-line block ×5, first 2 shown]
	v_add_f64 v[8:9], v[72:73], v[56:57]
	v_add_f64 v[10:11], v[78:79], -v[66:67]
	v_add_f64 v[24:25], v[80:81], v[24:25]
	v_add_f64 v[28:29], v[91:92], -v[46:47]
	v_add_f64 v[30:31], v[93:94], -v[54:55]
	;; [unrolled: 1-line block ×6, first 2 shown]
	v_add_f64 v[40:41], v[97:98], v[44:45]
	v_add_f64 v[32:33], v[89:90], v[32:33]
	v_add_f64 v[44:45], v[109:110], -v[122:123]
	v_add_f64 v[46:47], v[120:121], -v[70:71]
	;; [unrolled: 1-line block ×3, first 2 shown]
	v_fma_f64 v[48:49], v[50:51], 2.0, -v[20:21]
	v_add_f64 v[52:53], v[99:100], -v[124:125]
	v_add_f64 v[54:55], v[101:102], -v[126:127]
	v_fma_f64 v[50:51], v[62:63], 2.0, -v[22:23]
	v_fma_f64 v[60:61], v[58:59], 2.0, -v[12:13]
	;; [unrolled: 1-line block ×23, first 2 shown]
	buffer_gl0_inv
	ds_write_b128 v139, v[20:23] offset:10368
	ds_write_b128 v139, v[48:51] offset:3456
	;; [unrolled: 1-line block ×3, first 2 shown]
	ds_write_b128 v139, v[60:63]
	ds_write_b128 v111, v[64:67]
	ds_write_b128 v111, v[56:59] offset:3456
	ds_write_b128 v111, v[16:19] offset:6912
	;; [unrolled: 1-line block ×11, first 2 shown]
	ds_write_b128 v115, v[91:94]
	ds_write_b128 v115, v[87:90] offset:3456
	ds_write_b128 v115, v[44:47] offset:6912
	;; [unrolled: 1-line block ×7, first 2 shown]
	v_add_co_u32 v12, s0, 0x3000, v118
	v_add_co_ci_u32_e64 v13, s0, 0, v138, s0
	v_add_co_u32 v20, s0, 0x35a0, v118
	v_add_co_ci_u32_e64 v21, s0, 0, v138, s0
	s_waitcnt lgkmcnt(0)
	s_barrier
	buffer_gl0_inv
	s_clause 0x4
	global_load_dwordx4 v[0:3], v[142:143], off offset:1440
	global_load_dwordx4 v[8:11], v[6:7], off offset:16
	global_load_dwordx4 v[4:7], v[6:7], off offset:32
	global_load_dwordx4 v[12:15], v[12:13], off offset:1440
	global_load_dwordx4 v[16:19], v[20:21], off offset:16
	v_add_co_u32 v24, s0, 0x5000, v118
	v_add_co_ci_u32_e64 v25, s0, 0, v138, s0
	v_add_co_u32 v32, s0, 0x50a0, v118
	v_add_co_ci_u32_e64 v33, s0, 0, v138, s0
	v_add_co_u32 v36, s0, 0x6800, v118
	v_add_nc_u32_e32 v34, 0x5100, v82
	v_add_co_ci_u32_e64 v37, s0, 0, v138, s0
	v_add_co_u32 v44, s0, 0x6ba0, v118
	s_clause 0x1
	global_load_dwordx4 v[20:23], v[20:21], off offset:32
	global_load_dwordx4 v[24:27], v[24:25], off offset:160
	v_add_co_ci_u32_e64 v45, s0, 0, v138, s0
	global_load_dwordx4 v[28:31], v[32:33], off offset:16
	v_add_nc_u32_e32 v38, 0x6c00, v82
	v_add_co_u32 v46, s0, s12, v34
	global_load_dwordx4 v[32:35], v[32:33], off offset:32
	v_add_co_ci_u32_e64 v47, null, s13, 0, s0
	v_add_co_u32 v62, s0, s12, v38
	v_add_co_ci_u32_e64 v63, null, s13, 0, s0
	v_add_co_u32 v48, s0, 0x3000, v46
	v_add_co_ci_u32_e64 v49, s0, 0, v47, s0
	v_add_co_u32 v56, s0, 0x35a0, v46
	v_add_co_ci_u32_e64 v57, s0, 0, v47, s0
	;; [unrolled: 2-line block ×4, first 2 shown]
	s_clause 0x8
	global_load_dwordx4 v[36:39], v[36:37], off offset:928
	global_load_dwordx4 v[40:43], v[44:45], off offset:16
	;; [unrolled: 1-line block ×9, first 2 shown]
	ds_read_b128 v[72:75], v139 offset:13824
	ds_read_b128 v[76:79], v139 offset:27648
	;; [unrolled: 1-line block ×13, first 2 shown]
	s_waitcnt vmcnt(16) lgkmcnt(11)
	v_mul_f64 v[134:135], v[78:79], v[10:11]
	s_waitcnt vmcnt(15) lgkmcnt(10)
	v_mul_f64 v[136:137], v[82:83], v[6:7]
	v_mul_f64 v[140:141], v[80:81], v[6:7]
	;; [unrolled: 1-line block ×5, first 2 shown]
	s_waitcnt vmcnt(14) lgkmcnt(9)
	v_mul_f64 v[142:143], v[86:87], v[14:15]
	v_mul_f64 v[14:15], v[84:85], v[14:15]
	s_waitcnt vmcnt(13) lgkmcnt(8)
	v_mul_f64 v[144:145], v[90:91], v[18:19]
	v_mul_f64 v[18:19], v[88:89], v[18:19]
	;; [unrolled: 3-line block ×4, first 2 shown]
	v_fma_f64 v[136:137], v[80:81], v[4:5], v[136:137]
	v_fma_f64 v[140:141], v[82:83], v[4:5], -v[140:141]
	s_waitcnt vmcnt(10) lgkmcnt(2)
	v_mul_f64 v[4:5], v[122:123], v[30:31]
	v_mul_f64 v[30:31], v[120:121], v[30:31]
	v_fma_f64 v[132:133], v[72:73], v[0:1], v[132:133]
	v_fma_f64 v[146:147], v[74:75], v[0:1], -v[2:3]
	ds_read_b128 v[0:3], v139 offset:20736
	ds_read_b128 v[72:75], v139 offset:23040
	v_fma_f64 v[134:135], v[76:77], v[8:9], v[134:135]
	v_fma_f64 v[152:153], v[78:79], v[8:9], -v[10:11]
	ds_read_b128 v[6:9], v139 offset:34560
	ds_read_b128 v[76:79], v139 offset:36864
	v_fma_f64 v[84:85], v[84:85], v[12:13], v[142:143]
	s_waitcnt vmcnt(9) lgkmcnt(5)
	v_mul_f64 v[142:143], v[126:127], v[34:35]
	v_mul_f64 v[34:35], v[124:125], v[34:35]
	v_fma_f64 v[86:87], v[86:87], v[12:13], -v[14:15]
	ds_read_b128 v[10:13], v139 offset:50688
	v_fma_f64 v[88:89], v[88:89], v[16:17], v[144:145]
	v_fma_f64 v[90:91], v[90:91], v[16:17], -v[18:19]
	ds_read_b128 v[14:17], v139 offset:52992
	ds_read_b128 v[80:83], v139
	v_fma_f64 v[96:97], v[96:97], v[20:21], v[148:149]
	v_fma_f64 v[98:99], v[98:99], v[20:21], -v[22:23]
	v_fma_f64 v[100:101], v[100:101], v[24:25], v[150:151]
	v_fma_f64 v[26:27], v[102:103], v[24:25], -v[26:27]
	;; [unrolled: 2-line block ×3, first 2 shown]
	s_waitcnt vmcnt(8) lgkmcnt(6)
	v_mul_f64 v[18:19], v[2:3], v[38:39]
	v_mul_f64 v[20:21], v[0:1], v[38:39]
	s_waitcnt vmcnt(6)
	v_mul_f64 v[24:25], v[128:129], v[46:47]
	s_waitcnt lgkmcnt(4)
	v_mul_f64 v[22:23], v[8:9], v[42:43]
	v_mul_f64 v[38:39], v[6:7], v[42:43]
	;; [unrolled: 1-line block ×3, first 2 shown]
	s_waitcnt vmcnt(5)
	v_mul_f64 v[46:47], v[74:75], v[50:51]
	v_mul_f64 v[50:51], v[72:73], v[50:51]
	s_waitcnt vmcnt(4) lgkmcnt(3)
	v_mul_f64 v[102:103], v[78:79], v[54:55]
	v_mul_f64 v[30:31], v[76:77], v[54:55]
	s_waitcnt vmcnt(3) lgkmcnt(2)
	v_mul_f64 v[54:55], v[12:13], v[58:59]
	v_mul_f64 v[58:59], v[10:11], v[58:59]
	s_waitcnt vmcnt(2)
	v_mul_f64 v[122:123], v[106:107], v[62:63]
	v_fma_f64 v[124:125], v[124:125], v[32:33], v[142:143]
	v_fma_f64 v[32:33], v[126:127], v[32:33], -v[34:35]
	v_mul_f64 v[34:35], v[104:105], v[62:63]
	s_waitcnt vmcnt(1)
	v_mul_f64 v[62:63], v[110:111], v[66:67]
	v_mul_f64 v[66:67], v[108:109], v[66:67]
	s_waitcnt vmcnt(0) lgkmcnt(1)
	v_mul_f64 v[126:127], v[16:17], v[70:71]
	v_mul_f64 v[70:71], v[14:15], v[70:71]
	v_fma_f64 v[142:143], v[0:1], v[36:37], v[18:19]
	v_fma_f64 v[36:37], v[2:3], v[36:37], -v[20:21]
	v_fma_f64 v[144:145], v[6:7], v[40:41], v[22:23]
	v_fma_f64 v[8:9], v[8:9], v[40:41], -v[38:39]
	;; [unrolled: 2-line block ×3, first 2 shown]
	ds_read_b128 v[0:3], v139 offset:2304
	ds_read_b128 v[4:7], v139 offset:4608
	v_fma_f64 v[42:43], v[72:73], v[48:49], v[46:47]
	v_fma_f64 v[44:45], v[74:75], v[48:49], -v[50:51]
	v_fma_f64 v[46:47], v[76:77], v[52:53], v[102:103]
	v_fma_f64 v[30:31], v[78:79], v[52:53], -v[30:31]
	;; [unrolled: 2-line block ×6, first 2 shown]
	ds_read_b128 v[18:21], v139 offset:6912
	ds_read_b128 v[22:25], v139 offset:9216
	s_waitcnt lgkmcnt(4)
	v_add_f64 v[54:55], v[80:81], -v[134:135]
	v_add_f64 v[56:57], v[82:83], -v[152:153]
	;; [unrolled: 1-line block ×5, first 2 shown]
	s_waitcnt lgkmcnt(3)
	v_add_f64 v[62:63], v[0:1], -v[88:89]
	v_add_f64 v[64:65], v[2:3], -v[90:91]
	;; [unrolled: 1-line block ×3, first 2 shown]
	s_waitcnt lgkmcnt(2)
	v_add_f64 v[70:71], v[4:5], -v[120:121]
	v_add_f64 v[72:73], v[6:7], -v[28:29]
	;; [unrolled: 1-line block ×6, first 2 shown]
	s_waitcnt lgkmcnt(0)
	s_barrier
	buffer_gl0_inv
	v_add_f64 v[90:91], v[92:93], -v[50:51]
	v_add_f64 v[74:75], v[18:19], -v[144:145]
	;; [unrolled: 1-line block ×10, first 2 shown]
	v_fma_f64 v[80:81], v[80:81], 2.0, -v[54:55]
	v_fma_f64 v[82:83], v[82:83], 2.0, -v[56:57]
	v_add_f64 v[8:9], v[54:55], v[58:59]
	v_add_f64 v[10:11], v[56:57], -v[60:61]
	v_fma_f64 v[60:61], v[132:133], 2.0, -v[60:61]
	v_fma_f64 v[58:59], v[146:147], 2.0, -v[58:59]
	;; [unrolled: 1-line block ×4, first 2 shown]
	v_add_f64 v[0:1], v[62:63], v[66:67]
	v_add_f64 v[2:3], v[64:65], -v[68:69]
	v_fma_f64 v[68:69], v[84:85], 2.0, -v[68:69]
	v_fma_f64 v[66:67], v[86:87], 2.0, -v[66:67]
	;; [unrolled: 1-line block ×18, first 2 shown]
	v_add_f64 v[4:5], v[70:71], v[28:29]
	v_add_f64 v[6:7], v[72:73], -v[32:33]
	v_add_f64 v[12:13], v[74:75], v[40:41]
	v_add_f64 v[14:15], v[76:77], -v[38:39]
	;; [unrolled: 2-line block ×4, first 2 shown]
	v_add_f64 v[28:29], v[80:81], -v[60:61]
	v_add_f64 v[30:31], v[82:83], -v[58:59]
	;; [unrolled: 1-line block ×10, first 2 shown]
	v_fma_f64 v[24:25], v[54:55], 2.0, -v[8:9]
	v_fma_f64 v[26:27], v[56:57], 2.0, -v[10:11]
	v_add_f64 v[48:49], v[92:93], -v[48:49]
	v_add_f64 v[50:51], v[94:95], -v[130:131]
	ds_write_b128 v139, v[8:11] offset:41472
	v_fma_f64 v[8:9], v[62:63], 2.0, -v[0:1]
	v_fma_f64 v[10:11], v[64:65], 2.0, -v[2:3]
	ds_write_b128 v139, v[0:3] offset:43776
	v_fma_f64 v[0:1], v[70:71], 2.0, -v[4:5]
	v_fma_f64 v[2:3], v[72:73], 2.0, -v[6:7]
	;; [unrolled: 1-line block ×20, first 2 shown]
	ds_write_b128 v139, v[4:7] offset:46080
	ds_write_b128 v139, v[12:15] offset:48384
	;; [unrolled: 1-line block ×16, first 2 shown]
	ds_write_b128 v139, v[64:67]
	ds_write_b128 v139, v[68:71] offset:2304
	ds_write_b128 v139, v[72:75] offset:4608
	ds_write_b128 v139, v[76:79] offset:6912
	ds_write_b128 v139, v[80:83] offset:9216
	ds_write_b128 v139, v[84:87] offset:11520
	s_waitcnt lgkmcnt(0)
	s_barrier
	buffer_gl0_inv
	s_and_saveexec_b32 s0, vcc_lo
	s_cbranch_execz .LBB0_21
; %bb.20:
	v_mul_lo_u32 v2, s3, v116
	v_mul_lo_u32 v3, s2, v117
	v_mad_u64_u32 v[0:1], null, s2, v116, 0
	v_lshl_add_u32 v30, v114, 4, 0
	v_mov_b32_e32 v115, v119
	v_lshlrev_b64 v[12:13], 4, v[112:113]
	v_add_nc_u32_e32 v118, 0x90, v114
	v_add3_u32 v1, v1, v3, v2
	v_lshlrev_b64 v[14:15], 4, v[114:115]
	v_lshlrev_b64 v[16:17], 4, v[118:119]
	v_add_nc_u32_e32 v118, 0x120, v114
	v_lshlrev_b64 v[4:5], 4, v[0:1]
	ds_read_b128 v[0:3], v30
	v_add_co_u32 v18, vcc_lo, s10, v4
	v_add_co_ci_u32_e32 v19, vcc_lo, s11, v5, vcc_lo
	ds_read_b128 v[4:7], v30 offset:2304
	ds_read_b128 v[8:11], v30 offset:4608
	v_add_co_u32 v31, vcc_lo, v18, v12
	v_add_co_ci_u32_e32 v32, vcc_lo, v19, v13, vcc_lo
	v_lshlrev_b64 v[12:13], 4, v[118:119]
	v_add_co_u32 v18, vcc_lo, v31, v14
	v_add_co_ci_u32_e32 v19, vcc_lo, v32, v15, vcc_lo
	v_add_nc_u32_e32 v118, 0x1b0, v114
	v_add_co_u32 v16, vcc_lo, v31, v16
	v_add_co_ci_u32_e32 v17, vcc_lo, v32, v17, vcc_lo
	v_add_co_u32 v20, vcc_lo, v31, v12
	v_lshlrev_b64 v[22:23], 4, v[118:119]
	v_add_nc_u32_e32 v118, 0x240, v114
	v_add_co_ci_u32_e32 v21, vcc_lo, v32, v13, vcc_lo
	ds_read_b128 v[12:15], v30 offset:52992
	s_waitcnt lgkmcnt(3)
	global_store_dwordx4 v[18:19], v[0:3], off
	s_waitcnt lgkmcnt(2)
	global_store_dwordx4 v[16:17], v[4:7], off
	;; [unrolled: 2-line block ×3, first 2 shown]
	v_lshlrev_b64 v[20:21], 4, v[118:119]
	v_add_nc_u32_e32 v118, 0x2d0, v114
	ds_read_b128 v[0:3], v30 offset:6912
	ds_read_b128 v[4:7], v30 offset:9216
	;; [unrolled: 1-line block ×4, first 2 shown]
	v_add_co_u32 v22, vcc_lo, v31, v22
	v_lshlrev_b64 v[24:25], 4, v[118:119]
	v_add_nc_u32_e32 v118, 0x360, v114
	v_add_co_ci_u32_e32 v23, vcc_lo, v32, v23, vcc_lo
	v_add_co_u32 v20, vcc_lo, v31, v20
	v_lshlrev_b64 v[26:27], 4, v[118:119]
	v_add_nc_u32_e32 v118, 0x3f0, v114
	v_add_co_ci_u32_e32 v21, vcc_lo, v32, v21, vcc_lo
	v_add_co_u32 v24, vcc_lo, v31, v24
	v_add_co_ci_u32_e32 v25, vcc_lo, v32, v25, vcc_lo
	v_add_co_u32 v26, vcc_lo, v31, v26
	v_lshlrev_b64 v[28:29], 4, v[118:119]
	v_add_nc_u32_e32 v118, 0x480, v114
	v_add_co_ci_u32_e32 v27, vcc_lo, v32, v27, vcc_lo
	s_waitcnt lgkmcnt(3)
	global_store_dwordx4 v[22:23], v[0:3], off
	s_waitcnt lgkmcnt(2)
	global_store_dwordx4 v[20:21], v[4:7], off
	s_waitcnt lgkmcnt(1)
	global_store_dwordx4 v[24:25], v[8:11], off
	s_waitcnt lgkmcnt(0)
	global_store_dwordx4 v[26:27], v[16:19], off
	ds_read_b128 v[0:3], v30 offset:16128
	ds_read_b128 v[4:7], v30 offset:18432
	v_lshlrev_b64 v[20:21], 4, v[118:119]
	v_add_nc_u32_e32 v118, 0x510, v114
	ds_read_b128 v[8:11], v30 offset:20736
	ds_read_b128 v[16:19], v30 offset:23040
	v_add_co_u32 v22, vcc_lo, v31, v28
	v_add_co_ci_u32_e32 v23, vcc_lo, v32, v29, vcc_lo
	v_lshlrev_b64 v[24:25], 4, v[118:119]
	v_add_nc_u32_e32 v118, 0x5a0, v114
	v_add_co_u32 v20, vcc_lo, v31, v20
	v_add_co_ci_u32_e32 v21, vcc_lo, v32, v21, vcc_lo
	v_lshlrev_b64 v[26:27], 4, v[118:119]
	v_add_nc_u32_e32 v118, 0x630, v114
	v_add_co_u32 v24, vcc_lo, v31, v24
	v_add_co_ci_u32_e32 v25, vcc_lo, v32, v25, vcc_lo
	v_add_co_u32 v26, vcc_lo, v31, v26
	v_lshlrev_b64 v[28:29], 4, v[118:119]
	v_add_nc_u32_e32 v118, 0x6c0, v114
	v_add_co_ci_u32_e32 v27, vcc_lo, v32, v27, vcc_lo
	s_waitcnt lgkmcnt(3)
	global_store_dwordx4 v[22:23], v[0:3], off
	s_waitcnt lgkmcnt(2)
	global_store_dwordx4 v[20:21], v[4:7], off
	s_waitcnt lgkmcnt(1)
	global_store_dwordx4 v[24:25], v[8:11], off
	s_waitcnt lgkmcnt(0)
	global_store_dwordx4 v[26:27], v[16:19], off
	ds_read_b128 v[0:3], v30 offset:25344
	ds_read_b128 v[4:7], v30 offset:27648
	v_lshlrev_b64 v[20:21], 4, v[118:119]
	v_add_nc_u32_e32 v118, 0x750, v114
	ds_read_b128 v[8:11], v30 offset:29952
	ds_read_b128 v[16:19], v30 offset:32256
	v_add_co_u32 v22, vcc_lo, v31, v28
	v_add_co_ci_u32_e32 v23, vcc_lo, v32, v29, vcc_lo
	v_lshlrev_b64 v[24:25], 4, v[118:119]
	v_add_nc_u32_e32 v118, 0x7e0, v114
	v_add_co_u32 v20, vcc_lo, v31, v20
	v_add_co_ci_u32_e32 v21, vcc_lo, v32, v21, vcc_lo
	v_lshlrev_b64 v[26:27], 4, v[118:119]
	v_add_nc_u32_e32 v118, 0x870, v114
	;; [unrolled: 28-line block ×3, first 2 shown]
	v_add_co_u32 v24, vcc_lo, v31, v24
	v_add_co_ci_u32_e32 v25, vcc_lo, v32, v25, vcc_lo
	v_lshlrev_b64 v[28:29], 4, v[118:119]
	v_add_nc_u32_e32 v118, 0xb40, v114
	v_add_co_u32 v26, vcc_lo, v31, v26
	v_add_co_ci_u32_e32 v27, vcc_lo, v32, v27, vcc_lo
	s_waitcnt lgkmcnt(3)
	global_store_dwordx4 v[22:23], v[0:3], off
	s_waitcnt lgkmcnt(2)
	global_store_dwordx4 v[20:21], v[4:7], off
	;; [unrolled: 2-line block ×4, first 2 shown]
	v_lshlrev_b64 v[20:21], 4, v[118:119]
	v_add_nc_u32_e32 v118, 0xbd0, v114
	ds_read_b128 v[0:3], v30 offset:43776
	ds_read_b128 v[4:7], v30 offset:46080
	;; [unrolled: 1-line block ×4, first 2 shown]
	v_add_co_u32 v22, vcc_lo, v31, v28
	v_lshlrev_b64 v[24:25], 4, v[118:119]
	v_add_nc_u32_e32 v118, 0xc60, v114
	v_add_co_ci_u32_e32 v23, vcc_lo, v32, v29, vcc_lo
	v_add_co_u32 v20, vcc_lo, v31, v20
	v_lshlrev_b64 v[26:27], 4, v[118:119]
	v_add_nc_u32_e32 v118, 0xcf0, v114
	v_add_co_ci_u32_e32 v21, vcc_lo, v32, v21, vcc_lo
	v_add_co_u32 v24, vcc_lo, v31, v24
	v_lshlrev_b64 v[28:29], 4, v[118:119]
	v_add_co_ci_u32_e32 v25, vcc_lo, v32, v25, vcc_lo
	v_add_co_u32 v26, vcc_lo, v31, v26
	v_add_co_ci_u32_e32 v27, vcc_lo, v32, v27, vcc_lo
	v_add_co_u32 v28, vcc_lo, v31, v28
	v_add_co_ci_u32_e32 v29, vcc_lo, v32, v29, vcc_lo
	s_waitcnt lgkmcnt(3)
	global_store_dwordx4 v[22:23], v[0:3], off
	s_waitcnt lgkmcnt(2)
	global_store_dwordx4 v[20:21], v[4:7], off
	;; [unrolled: 2-line block ×4, first 2 shown]
	global_store_dwordx4 v[28:29], v[12:15], off
.LBB0_21:
	s_endpgm
	.section	.rodata,"a",@progbits
	.p2align	6, 0x0
	.amdhsa_kernel fft_rtc_back_len3456_factors_6_6_6_4_4_wgs_144_tpt_144_halfLds_dp_op_CI_CI_unitstride_sbrr_C2R_dirReg
		.amdhsa_group_segment_fixed_size 0
		.amdhsa_private_segment_fixed_size 0
		.amdhsa_kernarg_size 104
		.amdhsa_user_sgpr_count 6
		.amdhsa_user_sgpr_private_segment_buffer 1
		.amdhsa_user_sgpr_dispatch_ptr 0
		.amdhsa_user_sgpr_queue_ptr 0
		.amdhsa_user_sgpr_kernarg_segment_ptr 1
		.amdhsa_user_sgpr_dispatch_id 0
		.amdhsa_user_sgpr_flat_scratch_init 0
		.amdhsa_user_sgpr_private_segment_size 0
		.amdhsa_wavefront_size32 1
		.amdhsa_uses_dynamic_stack 0
		.amdhsa_system_sgpr_private_segment_wavefront_offset 0
		.amdhsa_system_sgpr_workgroup_id_x 1
		.amdhsa_system_sgpr_workgroup_id_y 0
		.amdhsa_system_sgpr_workgroup_id_z 0
		.amdhsa_system_sgpr_workgroup_info 0
		.amdhsa_system_vgpr_workitem_id 0
		.amdhsa_next_free_vgpr 167
		.amdhsa_next_free_sgpr 27
		.amdhsa_reserve_vcc 1
		.amdhsa_reserve_flat_scratch 0
		.amdhsa_float_round_mode_32 0
		.amdhsa_float_round_mode_16_64 0
		.amdhsa_float_denorm_mode_32 3
		.amdhsa_float_denorm_mode_16_64 3
		.amdhsa_dx10_clamp 1
		.amdhsa_ieee_mode 1
		.amdhsa_fp16_overflow 0
		.amdhsa_workgroup_processor_mode 1
		.amdhsa_memory_ordered 1
		.amdhsa_forward_progress 0
		.amdhsa_shared_vgpr_count 0
		.amdhsa_exception_fp_ieee_invalid_op 0
		.amdhsa_exception_fp_denorm_src 0
		.amdhsa_exception_fp_ieee_div_zero 0
		.amdhsa_exception_fp_ieee_overflow 0
		.amdhsa_exception_fp_ieee_underflow 0
		.amdhsa_exception_fp_ieee_inexact 0
		.amdhsa_exception_int_div_zero 0
	.end_amdhsa_kernel
	.text
.Lfunc_end0:
	.size	fft_rtc_back_len3456_factors_6_6_6_4_4_wgs_144_tpt_144_halfLds_dp_op_CI_CI_unitstride_sbrr_C2R_dirReg, .Lfunc_end0-fft_rtc_back_len3456_factors_6_6_6_4_4_wgs_144_tpt_144_halfLds_dp_op_CI_CI_unitstride_sbrr_C2R_dirReg
                                        ; -- End function
	.section	.AMDGPU.csdata,"",@progbits
; Kernel info:
; codeLenInByte = 19140
; NumSgprs: 29
; NumVgprs: 167
; ScratchSize: 0
; MemoryBound: 0
; FloatMode: 240
; IeeeMode: 1
; LDSByteSize: 0 bytes/workgroup (compile time only)
; SGPRBlocks: 3
; VGPRBlocks: 20
; NumSGPRsForWavesPerEU: 29
; NumVGPRsForWavesPerEU: 167
; Occupancy: 5
; WaveLimiterHint : 1
; COMPUTE_PGM_RSRC2:SCRATCH_EN: 0
; COMPUTE_PGM_RSRC2:USER_SGPR: 6
; COMPUTE_PGM_RSRC2:TRAP_HANDLER: 0
; COMPUTE_PGM_RSRC2:TGID_X_EN: 1
; COMPUTE_PGM_RSRC2:TGID_Y_EN: 0
; COMPUTE_PGM_RSRC2:TGID_Z_EN: 0
; COMPUTE_PGM_RSRC2:TIDIG_COMP_CNT: 0
	.text
	.p2alignl 6, 3214868480
	.fill 48, 4, 3214868480
	.type	__hip_cuid_faa0ec01572e515c,@object ; @__hip_cuid_faa0ec01572e515c
	.section	.bss,"aw",@nobits
	.globl	__hip_cuid_faa0ec01572e515c
__hip_cuid_faa0ec01572e515c:
	.byte	0                               ; 0x0
	.size	__hip_cuid_faa0ec01572e515c, 1

	.ident	"AMD clang version 19.0.0git (https://github.com/RadeonOpenCompute/llvm-project roc-6.4.0 25133 c7fe45cf4b819c5991fe208aaa96edf142730f1d)"
	.section	".note.GNU-stack","",@progbits
	.addrsig
	.addrsig_sym __hip_cuid_faa0ec01572e515c
	.amdgpu_metadata
---
amdhsa.kernels:
  - .args:
      - .actual_access:  read_only
        .address_space:  global
        .offset:         0
        .size:           8
        .value_kind:     global_buffer
      - .offset:         8
        .size:           8
        .value_kind:     by_value
      - .actual_access:  read_only
        .address_space:  global
        .offset:         16
        .size:           8
        .value_kind:     global_buffer
      - .actual_access:  read_only
        .address_space:  global
        .offset:         24
        .size:           8
        .value_kind:     global_buffer
      - .actual_access:  read_only
        .address_space:  global
        .offset:         32
        .size:           8
        .value_kind:     global_buffer
      - .offset:         40
        .size:           8
        .value_kind:     by_value
      - .actual_access:  read_only
        .address_space:  global
        .offset:         48
        .size:           8
        .value_kind:     global_buffer
      - .actual_access:  read_only
        .address_space:  global
        .offset:         56
        .size:           8
        .value_kind:     global_buffer
      - .offset:         64
        .size:           4
        .value_kind:     by_value
      - .actual_access:  read_only
        .address_space:  global
        .offset:         72
        .size:           8
        .value_kind:     global_buffer
      - .actual_access:  read_only
        .address_space:  global
        .offset:         80
        .size:           8
        .value_kind:     global_buffer
      - .actual_access:  read_only
        .address_space:  global
        .offset:         88
        .size:           8
        .value_kind:     global_buffer
      - .actual_access:  write_only
        .address_space:  global
        .offset:         96
        .size:           8
        .value_kind:     global_buffer
    .group_segment_fixed_size: 0
    .kernarg_segment_align: 8
    .kernarg_segment_size: 104
    .language:       OpenCL C
    .language_version:
      - 2
      - 0
    .max_flat_workgroup_size: 144
    .name:           fft_rtc_back_len3456_factors_6_6_6_4_4_wgs_144_tpt_144_halfLds_dp_op_CI_CI_unitstride_sbrr_C2R_dirReg
    .private_segment_fixed_size: 0
    .sgpr_count:     29
    .sgpr_spill_count: 0
    .symbol:         fft_rtc_back_len3456_factors_6_6_6_4_4_wgs_144_tpt_144_halfLds_dp_op_CI_CI_unitstride_sbrr_C2R_dirReg.kd
    .uniform_work_group_size: 1
    .uses_dynamic_stack: false
    .vgpr_count:     167
    .vgpr_spill_count: 0
    .wavefront_size: 32
    .workgroup_processor_mode: 1
amdhsa.target:   amdgcn-amd-amdhsa--gfx1030
amdhsa.version:
  - 1
  - 2
...

	.end_amdgpu_metadata
